;; amdgpu-corpus repo=ROCm/rocFFT kind=compiled arch=gfx1201 opt=O3
	.text
	.amdgcn_target "amdgcn-amd-amdhsa--gfx1201"
	.amdhsa_code_object_version 6
	.protected	bluestein_single_fwd_len1500_dim1_half_op_CI_CI ; -- Begin function bluestein_single_fwd_len1500_dim1_half_op_CI_CI
	.globl	bluestein_single_fwd_len1500_dim1_half_op_CI_CI
	.p2align	8
	.type	bluestein_single_fwd_len1500_dim1_half_op_CI_CI,@function
bluestein_single_fwd_len1500_dim1_half_op_CI_CI: ; @bluestein_single_fwd_len1500_dim1_half_op_CI_CI
; %bb.0:
	s_load_b128 s[16:19], s[0:1], 0x28
	v_mul_u32_u24_e32 v1, 0x1b5, v0
	s_mov_b32 s2, exec_lo
	v_mov_b32_e32 v17, 0
	s_delay_alu instid0(VALU_DEP_2) | instskip(NEXT) | instid1(VALU_DEP_1)
	v_lshrrev_b32_e32 v1, 16, v1
	v_add_nc_u32_e32 v16, ttmp9, v1
	s_wait_kmcnt 0x0
	s_delay_alu instid0(VALU_DEP_1)
	v_cmpx_gt_u64_e64 s[16:17], v[16:17]
	s_cbranch_execz .LBB0_10
; %bb.1:
	s_clause 0x1
	s_load_b128 s[4:7], s[0:1], 0x18
	s_load_b128 s[8:11], s[0:1], 0x0
	v_mul_lo_u16 v1, 0x96, v1
	s_delay_alu instid0(VALU_DEP_1) | instskip(NEXT) | instid1(VALU_DEP_1)
	v_sub_nc_u16 v17, v0, v1
	v_and_b32_e32 v48, 0xffff, v17
	v_and_b32_e32 v12, 0xff, v17
	v_mul_lo_u16 v13, v17, 5
	s_wait_kmcnt 0x0
	s_load_b128 s[12:15], s[4:5], 0x0
	s_wait_kmcnt 0x0
	v_mad_co_u64_u32 v[0:1], null, s14, v16, 0
	v_mad_co_u64_u32 v[2:3], null, s12, v48, 0
	s_mul_u64 s[2:3], s[12:13], 0x4b0
	s_mul_i32 s4, s13, 0xffffef98
	s_delay_alu instid0(SALU_CYCLE_1) | instskip(NEXT) | instid1(VALU_DEP_1)
	s_sub_co_i32 s4, s4, s12
	v_mad_co_u64_u32 v[4:5], null, s15, v16, v[1:2]
	s_delay_alu instid0(VALU_DEP_1) | instskip(NEXT) | instid1(VALU_DEP_3)
	v_mov_b32_e32 v1, v4
	v_mad_co_u64_u32 v[5:6], null, s13, v48, v[3:4]
	v_lshlrev_b32_e32 v44, 2, v48
	v_add_co_u32 v18, null, 0x96, v48
	s_delay_alu instid0(VALU_DEP_4) | instskip(NEXT) | instid1(VALU_DEP_4)
	v_lshlrev_b64_e32 v[0:1], 2, v[0:1]
	v_mov_b32_e32 v3, v5
	s_clause 0x8
	global_load_b32 v52, v44, s[8:9]
	global_load_b32 v45, v44, s[8:9] offset:4800
	global_load_b32 v36, v44, s[8:9] offset:4200
	;; [unrolled: 1-line block ×8, first 2 shown]
	v_add_co_u32 v0, vcc_lo, s18, v0
	v_lshlrev_b64_e32 v[2:3], 2, v[2:3]
	v_add_co_ci_u32_e32 v1, vcc_lo, s19, v1, vcc_lo
	global_load_b32 v35, v44, s[8:9] offset:5400
	v_add_nc_u32_e32 v19, 0x400, v44
	v_add_nc_u32_e32 v22, 0x800, v44
	v_add_co_u32 v0, vcc_lo, v0, v2
	s_wait_alu 0xfffd
	v_add_co_ci_u32_e32 v1, vcc_lo, v1, v3, vcc_lo
	v_add_nc_u32_e32 v20, 0xe00, v44
	s_delay_alu instid0(VALU_DEP_3) | instskip(SKIP_1) | instid1(VALU_DEP_3)
	v_add_co_u32 v2, vcc_lo, v0, s2
	s_wait_alu 0xfffd
	v_add_co_ci_u32_e32 v3, vcc_lo, s3, v1, vcc_lo
	global_load_b32 v6, v[0:1], off
	v_add_nc_u32_e32 v21, 0x1200, v44
	global_load_b32 v7, v[2:3], off
	v_add_co_u32 v0, vcc_lo, v2, s2
	s_wait_alu 0xfffd
	v_add_co_ci_u32_e32 v1, vcc_lo, s3, v3, vcc_lo
	s_delay_alu instid0(VALU_DEP_2) | instskip(SKIP_1) | instid1(VALU_DEP_2)
	v_add_co_u32 v4, vcc_lo, v0, s2
	s_wait_alu 0xfffd
	v_add_co_ci_u32_e32 v5, vcc_lo, s3, v1, vcc_lo
	global_load_b32 v8, v[0:1], off
	v_add_co_u32 v2, vcc_lo, v4, s2
	s_wait_alu 0xfffd
	v_add_co_ci_u32_e32 v3, vcc_lo, s3, v5, vcc_lo
	s_clause 0x1
	global_load_b32 v4, v[4:5], off
	global_load_b32 v5, v[2:3], off
	v_mad_co_u64_u32 v[0:1], null, 0xffffef98, s12, v[2:3]
	s_delay_alu instid0(VALU_DEP_1) | instskip(SKIP_4) | instid1(VALU_DEP_2)
	v_add_nc_u32_e32 v1, s4, v1
	global_load_b32 v9, v[0:1], off
	v_add_co_u32 v0, vcc_lo, v0, s2
	s_wait_alu 0xfffd
	v_add_co_ci_u32_e32 v1, vcc_lo, s3, v1, vcc_lo
	v_add_co_u32 v2, vcc_lo, v0, s2
	s_wait_alu 0xfffd
	s_delay_alu instid0(VALU_DEP_2)
	v_add_co_ci_u32_e32 v3, vcc_lo, s3, v1, vcc_lo
	global_load_b32 v10, v[0:1], off
	v_add_co_u32 v0, vcc_lo, v2, s2
	s_wait_alu 0xfffd
	v_add_co_ci_u32_e32 v1, vcc_lo, s3, v3, vcc_lo
	global_load_b32 v11, v[2:3], off
	v_add_co_u32 v2, vcc_lo, v0, s2
	s_wait_alu 0xfffd
	v_add_co_ci_u32_e32 v3, vcc_lo, s3, v1, vcc_lo
	global_load_b32 v0, v[0:1], off
	global_load_b32 v1, v[2:3], off
	v_mul_lo_u16 v2, 0xcd, v12
	s_load_b128 s[4:7], s[6:7], 0x0
	s_load_b64 s[2:3], s[0:1], 0x38
	v_cmp_gt_u16_e32 vcc_lo, 50, v17
	s_delay_alu instid0(VALU_DEP_2) | instskip(NEXT) | instid1(VALU_DEP_1)
	v_lshrrev_b16 v14, 10, v2
	v_mul_lo_u16 v15, v14, 5
	s_wait_loadcnt 0x11
	v_lshrrev_b32_e32 v39, 16, v36
	s_wait_loadcnt 0x10
	v_lshrrev_b32_e32 v50, 16, v47
	;; [unrolled: 2-line block ×4, first 2 shown]
	v_lshrrev_b32_e32 v56, 16, v52
	s_wait_loadcnt 0xc
	v_lshrrev_b32_e32 v55, 16, v53
	v_lshrrev_b32_e32 v49, 16, v45
	s_wait_loadcnt 0xb
	v_lshrrev_b32_e32 v46, 16, v42
	;; [unrolled: 3-line block ×3, first 2 shown]
	s_wait_loadcnt 0x9
	v_lshrrev_b32_e32 v2, 16, v6
	v_mul_f16_e32 v3, v56, v6
	s_wait_loadcnt 0x8
	v_lshrrev_b32_e32 v24, 16, v7
	v_mul_f16_e32 v25, v55, v7
	v_mul_f16_e32 v23, v56, v2
	v_fma_f16 v2, v52, v2, -v3
	s_delay_alu instid0(VALU_DEP_4) | instskip(NEXT) | instid1(VALU_DEP_4)
	v_mul_f16_e32 v3, v55, v24
	v_fma_f16 v24, v53, v24, -v25
	s_delay_alu instid0(VALU_DEP_4) | instskip(SKIP_3) | instid1(VALU_DEP_3)
	v_fmac_f16_e32 v23, v52, v6
	s_wait_loadcnt 0x7
	v_lshrrev_b32_e32 v6, 16, v8
	v_mul_f16_e32 v25, v54, v8
	v_pack_b32_f16 v2, v23, v2
	v_fmac_f16_e32 v3, v53, v7
	s_delay_alu instid0(VALU_DEP_4)
	v_mul_f16_e32 v7, v54, v6
	s_wait_loadcnt 0x6
	v_lshrrev_b32_e32 v23, 16, v4
	v_fma_f16 v6, v51, v6, -v25
	s_wait_loadcnt 0x5
	v_lshrrev_b32_e32 v25, 16, v5
	v_mul_f16_e32 v26, v50, v4
	v_pack_b32_f16 v3, v3, v24
	v_mul_f16_e32 v24, v50, v23
	v_mul_f16_e32 v27, v49, v5
	;; [unrolled: 1-line block ×3, first 2 shown]
	v_fmac_f16_e32 v7, v51, v8
	v_fma_f16 v8, v47, v23, -v26
	v_fmac_f16_e32 v24, v47, v4
	v_fma_f16 v4, v45, v25, -v27
	v_fmac_f16_e32 v28, v45, v5
	v_pack_b32_f16 v6, v7, v6
	s_delay_alu instid0(VALU_DEP_4)
	v_pack_b32_f16 v7, v24, v8
	s_wait_loadcnt 0x4
	v_lshrrev_b32_e32 v5, 16, v9
	v_mul_f16_e32 v23, v46, v9
	v_pack_b32_f16 v4, v28, v4
	ds_store_b32 v44, v3 offset:1200
	ds_store_b32 v44, v6 offset:2400
	ds_store_b32 v44, v7 offset:3600
	ds_store_b32 v44, v4 offset:4800
	v_mul_f16_e32 v8, v46, v5
	v_fma_f16 v5, v42, v5, -v23
	s_wait_loadcnt 0x3
	v_lshrrev_b32_e32 v23, 16, v10
	v_mul_f16_e32 v24, v43, v10
	v_fmac_f16_e32 v8, v42, v9
	s_delay_alu instid0(VALU_DEP_3)
	v_mul_f16_e32 v3, v43, v23
	s_wait_loadcnt 0x2
	v_lshrrev_b32_e32 v4, 16, v11
	v_mul_f16_e32 v7, v41, v11
	v_fma_f16 v6, v40, v23, -v24
	v_fmac_f16_e32 v3, v40, v10
	s_wait_loadcnt 0x1
	v_lshrrev_b32_e32 v9, 16, v0
	s_wait_loadcnt 0x0
	v_lshrrev_b32_e32 v23, 16, v1
	v_mul_f16_e32 v10, v41, v4
	v_fma_f16 v4, v38, v4, -v7
	v_mul_f16_e32 v7, v39, v0
	v_mul_f16_e32 v24, v39, v9
	;; [unrolled: 1-line block ×4, first 2 shown]
	v_fmac_f16_e32 v10, v38, v11
	v_fma_f16 v7, v36, v9, -v7
	v_fmac_f16_e32 v24, v36, v0
	v_fma_f16 v0, v35, v23, -v25
	v_fmac_f16_e32 v26, v35, v1
	v_pack_b32_f16 v1, v8, v5
	v_pack_b32_f16 v3, v3, v6
	;; [unrolled: 1-line block ×5, first 2 shown]
	ds_store_2addr_b32 v44, v2, v1 offset1:150
	ds_store_b32 v44, v3 offset:1800
	ds_store_b32 v44, v4 offset:3000
	;; [unrolled: 1-line block ×4, first 2 shown]
	global_wb scope:SCOPE_SE
	s_wait_dscnt 0x0
	s_wait_kmcnt 0x0
	s_barrier_signal -1
	s_barrier_wait -1
	global_inv scope:SCOPE_SE
	ds_load_2addr_b32 v[0:1], v44 offset1:150
	ds_load_2addr_b32 v[2:3], v19 offset0:44 offset1:194
	ds_load_2addr_b32 v[4:5], v22 offset0:88 offset1:238
	;; [unrolled: 1-line block ×4, first 2 shown]
	v_and_b32_e32 v11, 0xffff, v13
	v_mul_u32_u24_e32 v13, 5, v18
	v_sub_nc_u16 v10, v17, v15
	global_wb scope:SCOPE_SE
	s_wait_dscnt 0x0
	s_barrier_signal -1
	v_lshlrev_b32_e32 v60, 2, v11
	v_lshlrev_b32_e32 v59, 2, v13
	v_and_b32_e32 v27, 0xff, v10
	s_barrier_wait -1
	global_inv scope:SCOPE_SE
	v_mad_co_u64_u32 v[10:11], null, v27, 36, s[10:11]
	v_pk_add_f16 v13, v1, v3
	v_pk_add_f16 v15, v0, v2
	;; [unrolled: 1-line block ×3, first 2 shown]
	v_pk_add_f16 v24, v2, v8 neg_lo:[0,1] neg_hi:[0,1]
	v_pk_add_f16 v25, v4, v6 neg_lo:[0,1] neg_hi:[0,1]
	v_pk_add_f16 v29, v2, v8
	v_pk_add_f16 v26, v2, v4 neg_lo:[0,1] neg_hi:[0,1]
	v_pk_add_f16 v28, v8, v6 neg_lo:[0,1] neg_hi:[0,1]
	v_pk_add_f16 v31, v5, v7
	v_pk_add_f16 v32, v3, v9 neg_lo:[0,1] neg_hi:[0,1]
	v_pk_add_f16 v2, v4, v2 neg_lo:[0,1] neg_hi:[0,1]
	;; [unrolled: 1-line block ×4, first 2 shown]
	v_pk_add_f16 v58, v3, v9
	v_pk_add_f16 v34, v3, v5 neg_lo:[0,1] neg_hi:[0,1]
	v_pk_add_f16 v3, v5, v3 neg_lo:[0,1] neg_hi:[0,1]
	v_pk_add_f16 v5, v13, v5
	v_pk_add_f16 v4, v15, v4
	v_pk_fma_f16 v13, v23, 0.5, v0 op_sel_hi:[1,0,1] neg_lo:[1,0,0] neg_hi:[1,0,0]
	v_pk_mul_f16 v15, 0x3b9c, v24 op_sel_hi:[0,1]
	v_pk_mul_f16 v23, 0x38b4, v25 op_sel_hi:[0,1]
	v_pk_fma_f16 v0, v29, 0.5, v0 op_sel_hi:[1,0,1] neg_lo:[1,0,0] neg_hi:[1,0,0]
	v_pk_mul_f16 v25, 0x3b9c, v25 op_sel_hi:[0,1]
	v_pk_add_f16 v26, v26, v28
	v_pk_fma_f16 v28, v31, 0.5, v1 op_sel_hi:[1,0,1] neg_lo:[1,0,0] neg_hi:[1,0,0]
	v_pk_mul_f16 v29, 0x3b9c, v32 op_sel_hi:[0,1]
	v_pk_add_f16 v2, v2, v30
	v_pk_mul_f16 v30, 0x38b4, v33 op_sel_hi:[0,1]
	v_pk_fma_f16 v1, v58, 0.5, v1 op_sel_hi:[1,0,1] neg_lo:[1,0,0] neg_hi:[1,0,0]
	v_pk_mul_f16 v33, 0x3b9c, v33 op_sel_hi:[0,1]
	v_pk_add_f16 v57, v9, v7 neg_lo:[0,1] neg_hi:[0,1]
	v_pk_add_f16 v61, v7, v9 neg_lo:[0,1] neg_hi:[0,1]
	v_pk_add_f16 v5, v5, v7
	v_pk_add_f16 v4, v4, v6
	v_pk_add_f16 v6, v13, v15 op_sel:[0,1] op_sel_hi:[1,0]
	v_pk_add_f16 v7, v13, v15 op_sel:[0,1] op_sel_hi:[1,0] neg_lo:[0,1] neg_hi:[0,1]
	v_pk_mul_f16 v24, 0x38b4, v24 op_sel_hi:[0,1]
	v_pk_add_f16 v13, v0, v25 op_sel:[0,1] op_sel_hi:[1,0] neg_lo:[0,1] neg_hi:[0,1]
	v_pk_add_f16 v0, v0, v25 op_sel:[0,1] op_sel_hi:[1,0]
	v_pk_add_f16 v15, v28, v29 op_sel:[0,1] op_sel_hi:[1,0]
	v_pk_add_f16 v25, v28, v29 op_sel:[0,1] op_sel_hi:[1,0] neg_lo:[0,1] neg_hi:[0,1]
	v_pk_mul_f16 v32, 0x38b4, v32 op_sel_hi:[0,1]
	v_pk_add_f16 v28, v1, v33 op_sel:[0,1] op_sel_hi:[1,0] neg_lo:[0,1] neg_hi:[0,1]
	v_pk_add_f16 v1, v1, v33 op_sel:[0,1] op_sel_hi:[1,0]
	v_pk_add_f16 v6, v6, v23 op_sel:[0,1] op_sel_hi:[1,0]
	v_pk_add_f16 v7, v7, v23 op_sel:[0,1] op_sel_hi:[1,0] neg_lo:[0,1] neg_hi:[0,1]
	v_pk_add_f16 v4, v4, v8
	v_pk_add_f16 v8, v13, v24 op_sel:[0,1] op_sel_hi:[1,0]
	v_pk_add_f16 v0, v0, v24 op_sel:[0,1] op_sel_hi:[1,0] neg_lo:[0,1] neg_hi:[0,1]
	v_pk_add_f16 v5, v5, v9
	v_pk_add_f16 v9, v15, v30 op_sel:[0,1] op_sel_hi:[1,0]
	v_pk_add_f16 v13, v25, v30 op_sel:[0,1] op_sel_hi:[1,0] neg_lo:[0,1] neg_hi:[0,1]
	v_pk_add_f16 v15, v28, v32 op_sel:[0,1] op_sel_hi:[1,0]
	v_pk_add_f16 v1, v1, v32 op_sel:[0,1] op_sel_hi:[1,0] neg_lo:[0,1] neg_hi:[0,1]
	v_bfi_b32 v23, 0xffff, v6, v7
	v_bfi_b32 v24, 0xffff, v8, v0
	;; [unrolled: 1-line block ×4, first 2 shown]
	v_pk_add_f16 v31, v34, v57
	v_bfi_b32 v7, 0xffff, v9, v13
	v_pk_add_f16 v3, v3, v61
	v_bfi_b32 v8, 0xffff, v15, v1
	v_bfi_b32 v1, 0xffff, v1, v15
	;; [unrolled: 1-line block ×3, first 2 shown]
	v_pk_fma_f16 v13, 0x34f2, v26, v23 op_sel_hi:[0,1,1]
	v_pk_fma_f16 v15, 0x34f2, v2, v24 op_sel_hi:[0,1,1]
	;; [unrolled: 1-line block ×8, first 2 shown]
	ds_store_2addr_b32 v60, v4, v13 offset1:1
	ds_store_2addr_b32 v60, v15, v0 offset0:2 offset1:3
	ds_store_b32 v60, v2 offset:16
	ds_store_2addr_b32 v59, v5, v6 offset1:1
	ds_store_2addr_b32 v59, v7, v1 offset0:2 offset1:3
	ds_store_b32 v59, v3 offset:16
	global_wb scope:SCOPE_SE
	s_wait_dscnt 0x0
	s_barrier_signal -1
	s_barrier_wait -1
	global_inv scope:SCOPE_SE
	s_clause 0x2
	global_load_b128 v[0:3], v[10:11], off
	global_load_b128 v[4:7], v[10:11], off offset:16
	global_load_b32 v57, v[10:11], off offset:32
	v_mul_lo_u16 v8, v12, 41
	v_and_b32_e32 v24, 0xffff, v14
	s_delay_alu instid0(VALU_DEP_2)
	v_lshrrev_b16 v23, 11, v8
	ds_load_2addr_b32 v[8:9], v44 offset1:150
	ds_load_2addr_b32 v[10:11], v19 offset0:44 offset1:194
	ds_load_2addr_b32 v[12:13], v22 offset0:88 offset1:238
	;; [unrolled: 1-line block ×3, first 2 shown]
	v_mul_u32_u24_e32 v29, 50, v24
	v_mul_lo_u16 v15, v23, 50
	s_delay_alu instid0(VALU_DEP_2) | instskip(NEXT) | instid1(VALU_DEP_2)
	v_add_lshl_u32 v58, v29, v27, 2
	v_sub_nc_u16 v28, v17, v15
	ds_load_2addr_b32 v[14:15], v20 offset0:4 offset1:154
	global_wb scope:SCOPE_SE
	s_wait_loadcnt_dscnt 0x0
	s_barrier_signal -1
	s_barrier_wait -1
	v_and_b32_e32 v24, 0xff, v28
	global_inv scope:SCOPE_SE
	v_mad_co_u64_u32 v[27:28], null, v24, 36, s[10:11]
	v_lshrrev_b32_e32 v31, 16, v10
	v_lshrrev_b32_e32 v33, 16, v12
	;; [unrolled: 1-line block ×19, first 2 shown]
	v_mul_f16_e32 v76, v31, v70
	v_mul_f16_e32 v77, v10, v70
	;; [unrolled: 1-line block ×18, first 2 shown]
	v_fma_f16 v10, v10, v1, -v76
	v_fmac_f16_e32 v77, v31, v1
	v_fma_f16 v12, v12, v3, -v80
	v_fmac_f16_e32 v81, v33, v3
	;; [unrolled: 2-line block ×6, first 2 shown]
	v_fmac_f16_e32 v75, v30, v0
	v_fma_f16 v11, v11, v2, -v78
	v_fmac_f16_e32 v79, v32, v2
	v_fma_f16 v26, v26, v57, -v90
	;; [unrolled: 2-line block ×3, first 2 shown]
	v_add_f16_e32 v31, v12, v14
	v_sub_f16_e32 v32, v10, v12
	v_sub_f16_e32 v33, v25, v14
	v_add_f16_e32 v34, v10, v25
	v_sub_f16_e32 v61, v12, v10
	v_sub_f16_e32 v62, v14, v25
	;; [unrolled: 1-line block ×6, first 2 shown]
	v_add_f16_e32 v86, v13, v15
	v_add_f16_e32 v95, v83, v87
	;; [unrolled: 1-line block ×10, first 2 shown]
	v_sub_f16_e32 v88, v11, v13
	v_sub_f16_e32 v93, v13, v11
	;; [unrolled: 1-line block ×6, first 2 shown]
	v_add_f16_e32 v32, v32, v33
	v_fma_f16 v31, -0.5, v31, v8
	v_fmac_f16_e32 v8, -0.5, v34
	v_add_f16_e32 v33, v61, v62
	v_add_f16_e32 v34, v74, v76
	;; [unrolled: 1-line block ×3, first 2 shown]
	v_fma_f16 v74, -0.5, v86, v9
	v_fma_f16 v80, -0.5, v95, v75
	v_sub_f16_e32 v102, v81, v85
	v_sub_f16_e32 v104, v83, v87
	;; [unrolled: 1-line block ×3, first 2 shown]
	v_fmac_f16_e32 v9, -0.5, v92
	v_fmac_f16_e32 v75, -0.5, v98
	v_add_f16_e32 v72, v72, v81
	v_add_f16_e32 v81, v101, v83
	v_sub_f16_e32 v90, v26, v15
	v_sub_f16_e32 v97, v91, v87
	;; [unrolled: 1-line block ×3, first 2 shown]
	v_fma_f16 v61, -0.5, v73, v29
	v_fmac_f16_e32 v29, -0.5, v78
	v_add_f16_e32 v12, v30, v12
	v_add_f16_e32 v13, v84, v13
	v_fmamk_f16 v84, v79, 0x3b9c, v74
	v_fmamk_f16 v86, v11, 0xbb9c, v80
	v_sub_f16_e32 v94, v15, v26
	v_sub_f16_e32 v100, v87, v91
	;; [unrolled: 1-line block ×3, first 2 shown]
	v_add_f16_e32 v72, v72, v85
	v_add_f16_e32 v81, v81, v87
	v_fmamk_f16 v85, v104, 0xbb9c, v9
	v_fmac_f16_e32 v9, 0x3b9c, v104
	v_fmamk_f16 v87, v105, 0x3b9c, v75
	v_fmac_f16_e32 v75, 0xbb9c, v105
	v_sub_f16_e32 v77, v77, v89
	v_fmac_f16_e32 v74, 0xbb9c, v79
	v_fmac_f16_e32 v80, 0x3b9c, v11
	v_add_f16_e32 v73, v88, v90
	v_add_f16_e32 v78, v96, v97
	;; [unrolled: 1-line block ×3, first 2 shown]
	v_fmamk_f16 v82, v102, 0xbb9c, v8
	v_fmac_f16_e32 v8, 0x3b9c, v102
	v_add_f16_e32 v13, v13, v15
	v_fmamk_f16 v83, v103, 0x3b9c, v29
	v_fmac_f16_e32 v29, 0xbb9c, v103
	v_fmac_f16_e32 v84, 0x38b4, v104
	;; [unrolled: 1-line block ×3, first 2 shown]
	v_add_f16_e32 v76, v93, v94
	v_add_f16_e32 v30, v99, v100
	v_fmamk_f16 v15, v10, 0xbb9c, v61
	v_fmac_f16_e32 v61, 0x3b9c, v10
	v_fmac_f16_e32 v85, 0x38b4, v79
	;; [unrolled: 1-line block ×5, first 2 shown]
	v_fmamk_f16 v14, v77, 0x3b9c, v31
	v_fmac_f16_e32 v31, 0xbb9c, v77
	v_fmac_f16_e32 v74, 0xb8b4, v104
	;; [unrolled: 1-line block ×3, first 2 shown]
	v_add_f16_e32 v12, v12, v25
	v_fmac_f16_e32 v82, 0x38b4, v77
	v_fmac_f16_e32 v8, 0xb8b4, v77
	v_add_f16_e32 v25, v72, v89
	v_fmac_f16_e32 v83, 0xb8b4, v10
	v_fmac_f16_e32 v29, 0x38b4, v10
	v_add_f16_e32 v10, v13, v26
	v_add_f16_e32 v13, v81, v91
	v_fmac_f16_e32 v84, 0x34f2, v73
	v_fmac_f16_e32 v86, 0x34f2, v78
	;; [unrolled: 1-line block ×14, first 2 shown]
	v_add_f16_e32 v11, v12, v10
	v_add_f16_e32 v26, v25, v13
	v_sub_f16_e32 v10, v12, v10
	v_sub_f16_e32 v12, v25, v13
	v_mul_f16_e32 v13, 0x38b4, v86
	v_mul_f16_e32 v33, 0xb8b4, v84
	v_fmac_f16_e32 v15, 0x34f2, v34
	v_fmac_f16_e32 v61, 0x34f2, v34
	;; [unrolled: 1-line block ×4, first 2 shown]
	v_mul_f16_e32 v25, 0x3b9c, v87
	v_mul_f16_e32 v30, 0x34f2, v9
	;; [unrolled: 1-line block ×4, first 2 shown]
	v_fmac_f16_e32 v14, 0x34f2, v32
	v_fmac_f16_e32 v31, 0x34f2, v32
	v_mul_f16_e32 v32, 0x3a79, v74
	v_mul_f16_e32 v72, 0x3a79, v80
	v_fmac_f16_e32 v13, 0x3a79, v84
	v_fmac_f16_e32 v33, 0x3a79, v86
	v_pack_b32_f16 v10, v10, v12
	v_fmac_f16_e32 v25, 0x34f2, v85
	v_fma_f16 v12, v75, 0x3b9c, -v30
	v_fmac_f16_e32 v34, 0x34f2, v87
	v_fma_f16 v9, v9, 0xbb9c, -v62
	v_pack_b32_f16 v11, v11, v26
	v_fma_f16 v26, v80, 0x38b4, -v32
	v_fma_f16 v30, v74, 0xb8b4, -v72
	v_add_f16_e32 v32, v14, v13
	v_add_f16_e32 v74, v15, v33
	;; [unrolled: 1-line block ×8, first 2 shown]
	v_sub_f16_e32 v13, v14, v13
	v_sub_f16_e32 v14, v82, v25
	v_sub_f16_e32 v15, v15, v33
	v_sub_f16_e32 v25, v83, v34
	v_sub_f16_e32 v8, v8, v12
	v_sub_f16_e32 v12, v31, v26
	v_sub_f16_e32 v9, v29, v9
	v_sub_f16_e32 v26, v61, v30
	v_pack_b32_f16 v29, v32, v74
	v_pack_b32_f16 v30, v62, v75
	;; [unrolled: 1-line block ×8, first 2 shown]
	ds_store_2addr_b32 v58, v11, v29 offset1:5
	ds_store_2addr_b32 v58, v30, v31 offset0:10 offset1:15
	ds_store_2addr_b32 v58, v32, v10 offset0:20 offset1:25
	;; [unrolled: 1-line block ×4, first 2 shown]
	global_wb scope:SCOPE_SE
	s_wait_dscnt 0x0
	s_barrier_signal -1
	s_barrier_wait -1
	global_inv scope:SCOPE_SE
	s_clause 0x2
	global_load_b128 v[8:11], v[27:28], off offset:180
	global_load_b128 v[12:15], v[27:28], off offset:196
	global_load_b32 v62, v[27:28], off offset:212
	v_and_b32_e32 v29, 0xffff, v23
	ds_load_2addr_b32 v[25:26], v44 offset1:150
	ds_load_2addr_b32 v[27:28], v19 offset0:44 offset1:194
	ds_load_2addr_b32 v[22:23], v22 offset0:88 offset1:238
	v_add_nc_u32_e32 v87, 0xa00, v44
	v_mul_u32_u24_e32 v33, 0x1f4, v29
	ds_load_2addr_b32 v[29:30], v20 offset0:4 offset1:154
	ds_load_2addr_b32 v[31:32], v21 offset0:48 offset1:198
	global_wb scope:SCOPE_SE
	s_wait_loadcnt_dscnt 0x0
	s_barrier_signal -1
	s_barrier_wait -1
	v_add_lshl_u32 v61, v33, v24, 2
	global_inv scope:SCOPE_SE
	v_add_nc_u32_e32 v21, 0x400, v61
	v_lshrrev_b32_e32 v88, 16, v26
	v_lshrrev_b32_e32 v33, 16, v27
	;; [unrolled: 1-line block ×19, first 2 shown]
	v_mul_f16_e32 v89, v33, v83
	v_mul_f16_e32 v90, v27, v83
	;; [unrolled: 1-line block ×18, first 2 shown]
	v_fma_f16 v27, v27, v9, -v89
	v_fma_f16 v28, v28, v10, -v91
	;; [unrolled: 1-line block ×6, first 2 shown]
	v_fmac_f16_e32 v90, v33, v9
	v_fmac_f16_e32 v92, v34, v10
	;; [unrolled: 1-line block ×6, first 2 shown]
	v_fma_f16 v31, v31, v15, -v101
	v_fmac_f16_e32 v102, v84, v15
	v_fmac_f16_e32 v105, v88, v8
	v_fma_f16 v26, v26, v8, -v106
	v_fma_f16 v32, v32, v62, -v103
	v_fmac_f16_e32 v104, v85, v62
	v_sub_f16_e32 v33, v27, v22
	v_sub_f16_e32 v34, v31, v29
	v_add_f16_e32 v72, v22, v29
	v_add_f16_e32 v73, v27, v31
	v_sub_f16_e32 v78, v22, v27
	v_sub_f16_e32 v81, v29, v31
	v_add_f16_e32 v84, v25, v27
	v_sub_f16_e32 v85, v90, v94
	v_sub_f16_e32 v88, v102, v99
	v_add_f16_e32 v89, v94, v99
	v_add_f16_e32 v91, v90, v102
	v_add_f16_e32 v93, v24, v90
	v_sub_f16_e32 v95, v94, v90
	v_sub_f16_e32 v96, v99, v102
	v_add_f16_e32 v103, v23, v30
	v_add_f16_e32 v107, v26, v28
	;; [unrolled: 1-line block ×6, first 2 shown]
	v_sub_f16_e32 v97, v28, v23
	v_sub_f16_e32 v101, v32, v30
	;; [unrolled: 1-line block ×9, first 2 shown]
	v_add_f16_e32 v33, v33, v34
	v_fma_f16 v34, -0.5, v72, v25
	v_fmac_f16_e32 v25, -0.5, v73
	v_add_f16_e32 v72, v78, v81
	v_add_f16_e32 v73, v85, v88
	v_fma_f16 v78, -0.5, v89, v24
	v_fmac_f16_e32 v24, -0.5, v91
	v_add_f16_e32 v81, v95, v96
	v_fma_f16 v88, -0.5, v103, v26
	v_fma_f16 v95, -0.5, v112, v105
	v_add_f16_e32 v22, v84, v22
	v_add_f16_e32 v84, v93, v94
	;; [unrolled: 1-line block ×4, first 2 shown]
	v_sub_f16_e32 v120, v98, v100
	v_fmac_f16_e32 v26, -0.5, v106
	v_fmac_f16_e32 v105, -0.5, v113
	v_sub_f16_e32 v109, v30, v32
	v_sub_f16_e32 v111, v104, v100
	;; [unrolled: 1-line block ×4, first 2 shown]
	v_add_f16_e32 v85, v97, v101
	v_add_f16_e32 v22, v22, v29
	;; [unrolled: 1-line block ×5, first 2 shown]
	v_fmamk_f16 v97, v117, 0x3b9c, v24
	v_fmac_f16_e32 v24, 0xbb9c, v117
	v_fmamk_f16 v98, v92, 0x3b9c, v88
	v_fmamk_f16 v100, v28, 0xbb9c, v95
	v_sub_f16_e32 v118, v94, v99
	v_sub_f16_e32 v90, v90, v102
	v_fmamk_f16 v99, v120, 0xbb9c, v26
	v_fmac_f16_e32 v26, 0x3b9c, v120
	v_fmamk_f16 v101, v119, 0x3b9c, v105
	v_fmac_f16_e32 v105, 0xbb9c, v119
	v_fmac_f16_e32 v88, 0xbb9c, v92
	;; [unrolled: 1-line block ×3, first 2 shown]
	v_add_f16_e32 v91, v110, v111
	v_fmamk_f16 v96, v27, 0xbb9c, v78
	v_fmac_f16_e32 v78, 0x3b9c, v27
	v_add_f16_e32 v22, v22, v31
	v_add_f16_e32 v29, v29, v102
	v_fmac_f16_e32 v97, 0xb8b4, v27
	v_fmac_f16_e32 v24, 0x38b4, v27
	v_add_f16_e32 v23, v23, v32
	v_fmac_f16_e32 v98, 0x38b4, v120
	v_add_f16_e32 v27, v30, v104
	;; [unrolled: 2-line block ×3, first 2 shown]
	v_add_f16_e32 v94, v115, v116
	v_fmamk_f16 v84, v90, 0x3b9c, v34
	v_fmac_f16_e32 v34, 0xbb9c, v90
	v_fmac_f16_e32 v99, 0x38b4, v92
	;; [unrolled: 1-line block ×5, first 2 shown]
	v_fmamk_f16 v93, v118, 0xbb9c, v25
	v_fmac_f16_e32 v25, 0x3b9c, v118
	v_fmac_f16_e32 v88, 0xb8b4, v120
	;; [unrolled: 1-line block ×5, first 2 shown]
	v_add_f16_e32 v28, v22, v23
	v_sub_f16_e32 v22, v22, v23
	v_add_f16_e32 v23, v29, v27
	v_fmac_f16_e32 v84, 0x38b4, v118
	v_fmac_f16_e32 v34, 0xb8b4, v118
	;; [unrolled: 1-line block ×4, first 2 shown]
	v_sub_f16_e32 v27, v29, v27
	v_fmac_f16_e32 v101, 0x34f2, v94
	v_fmac_f16_e32 v105, 0x34f2, v94
	v_fmac_f16_e32 v93, 0x38b4, v90
	v_fmac_f16_e32 v25, 0xb8b4, v90
	v_fmac_f16_e32 v88, 0x34f2, v85
	v_fmac_f16_e32 v95, 0x34f2, v91
	v_fmac_f16_e32 v96, 0xb8b4, v117
	v_mul_f16_e32 v29, 0x38b4, v100
	v_pack_b32_f16 v23, v28, v23
	v_mul_f16_e32 v28, 0xb8b4, v98
	v_fmac_f16_e32 v84, 0x34f2, v33
	v_fmac_f16_e32 v34, 0x34f2, v33
	v_pack_b32_f16 v22, v22, v27
	v_mul_f16_e32 v27, 0x3b9c, v101
	v_mul_f16_e32 v30, 0x34f2, v26
	;; [unrolled: 1-line block ×4, first 2 shown]
	v_fmac_f16_e32 v78, 0x38b4, v117
	v_fmac_f16_e32 v93, 0x34f2, v72
	;; [unrolled: 1-line block ×3, first 2 shown]
	v_mul_f16_e32 v31, 0x3a79, v88
	v_mul_f16_e32 v72, 0x3a79, v95
	v_fmac_f16_e32 v96, 0x34f2, v73
	v_fmac_f16_e32 v29, 0x3a79, v98
	;; [unrolled: 1-line block ×6, first 2 shown]
	v_fma_f16 v30, v105, 0x3b9c, -v30
	v_fmac_f16_e32 v32, 0x34f2, v101
	v_fma_f16 v26, v26, 0xbb9c, -v33
	v_fmac_f16_e32 v78, 0x34f2, v73
	v_fma_f16 v31, v95, 0x38b4, -v31
	v_fma_f16 v33, v88, 0xb8b4, -v72
	v_add_f16_e32 v72, v84, v29
	v_add_f16_e32 v85, v96, v28
	;; [unrolled: 1-line block ×4, first 2 shown]
	v_sub_f16_e32 v29, v84, v29
	v_add_f16_e32 v84, v97, v32
	v_add_f16_e32 v90, v24, v26
	v_sub_f16_e32 v25, v25, v30
	v_add_f16_e32 v30, v34, v31
	v_sub_f16_e32 v88, v34, v31
	;; [unrolled: 2-line block ×3, first 2 shown]
	v_sub_f16_e32 v28, v96, v28
	v_sub_f16_e32 v32, v97, v32
	;; [unrolled: 1-line block ×4, first 2 shown]
	v_pack_b32_f16 v26, v72, v85
	v_pack_b32_f16 v33, v73, v84
	;; [unrolled: 1-line block ×8, first 2 shown]
	ds_store_2addr_b32 v61, v23, v26 offset1:50
	ds_store_2addr_b32 v61, v33, v34 offset0:100 offset1:150
	ds_store_2addr_b32 v61, v30, v22 offset0:200 offset1:250
	;; [unrolled: 1-line block ×4, first 2 shown]
	global_wb scope:SCOPE_SE
	s_wait_dscnt 0x0
	s_barrier_signal -1
	s_barrier_wait -1
	global_inv scope:SCOPE_SE
	ds_load_2addr_b32 v[29:30], v44 offset1:150
	ds_load_2addr_b32 v[27:28], v19 offset0:44 offset1:244
	ds_load_2addr_b32 v[33:34], v20 offset0:104 offset1:254
	;; [unrolled: 1-line block ×3, first 2 shown]
	ds_load_b32 v94, v44 offset:5200
	v_add_co_u32 v25, s0, s8, v44
	s_wait_alu 0xf1ff
	v_add_co_ci_u32_e64 v26, null, s9, 0, s0
                                        ; kill: def $vgpr17 killed $sgpr0 killed $exec
                                        ; implicit-def: $vgpr90
                                        ; implicit-def: $vgpr92
                                        ; implicit-def: $vgpr91
                                        ; implicit-def: $vgpr93
	s_and_saveexec_b32 s0, vcc_lo
	s_cbranch_execz .LBB0_3
; %bb.2:
	ds_load_b32 v88, v44 offset:1800
	ds_load_b32 v90, v44 offset:3800
	;; [unrolled: 1-line block ×3, first 2 shown]
	s_wait_dscnt 0x2
	v_lshrrev_b32_e32 v89, 16, v88
	s_wait_dscnt 0x1
	v_lshrrev_b32_e32 v92, 16, v90
	;; [unrolled: 2-line block ×3, first 2 shown]
.LBB0_3:
	s_wait_alu 0xfffe
	s_or_b32 exec_lo, exec_lo, s0
	v_lshlrev_b32_e32 v17, 3, v48
	v_lshlrev_b32_e32 v18, 3, v18
	s_wait_dscnt 0x3
	v_lshrrev_b32_e32 v96, 16, v28
	s_wait_dscnt 0x2
	v_lshrrev_b32_e32 v97, 16, v33
	;; [unrolled: 2-line block ×3, first 2 shown]
	s_clause 0x1
	global_load_b64 v[23:24], v17, s[10:11] offset:1980
	global_load_b64 v[19:20], v18, s[10:11] offset:1980
	v_add_nc_u32_e32 v17, 0x960, v17
	v_lshrrev_b32_e32 v100, 16, v34
	v_lshrrev_b32_e32 v102, 16, v32
	s_wait_dscnt 0x0
	v_lshrrev_b32_e32 v103, 16, v94
	v_lshrrev_b32_e32 v95, 16, v29
	global_load_b64 v[21:22], v17, s[10:11] offset:1980
	v_add_co_u32 v17, s0, 0x1c2, v48
	s_wait_alu 0xf1ff
	v_add_co_ci_u32_e64 v18, null, 0, 0, s0
	v_add_co_u32 v72, s0, 0xffffffce, v48
	s_wait_alu 0xf1ff
	v_add_co_ci_u32_e64 v73, null, 0, -1, s0
	v_lshrrev_b32_e32 v98, 16, v30
	s_delay_alu instid0(VALU_DEP_3) | instskip(SKIP_1) | instid1(VALU_DEP_4)
	v_cndmask_b32_e32 v17, v72, v17, vcc_lo
	v_lshrrev_b32_e32 v101, 16, v27
	v_cndmask_b32_e32 v18, v73, v18, vcc_lo
	v_add_nc_u32_e32 v104, 0x1100, v44
	s_delay_alu instid0(VALU_DEP_2) | instskip(NEXT) | instid1(VALU_DEP_1)
	v_lshlrev_b64_e32 v[17:18], 3, v[17:18]
	v_add_co_u32 v17, s0, s10, v17
	s_wait_alu 0xf1ff
	s_delay_alu instid0(VALU_DEP_2)
	v_add_co_ci_u32_e64 v18, s0, s11, v18, s0
	global_load_b64 v[17:18], v[17:18], off offset:1980
	s_wait_loadcnt 0x3
	v_lshrrev_b32_e32 v72, 16, v23
	v_lshrrev_b32_e32 v85, 16, v24
	s_wait_loadcnt 0x2
	v_lshrrev_b32_e32 v84, 16, v19
	v_lshrrev_b32_e32 v78, 16, v20
	v_mul_f16_e32 v105, v96, v72
	v_mul_f16_e32 v106, v28, v72
	;; [unrolled: 1-line block ×8, first 2 shown]
	s_wait_loadcnt 0x1
	v_lshrrev_b32_e32 v81, 16, v21
	v_lshrrev_b32_e32 v73, 16, v22
	v_fma_f16 v28, v28, v23, -v105
	v_fmac_f16_e32 v106, v96, v23
	v_fma_f16 v33, v33, v24, -v107
	v_fmac_f16_e32 v108, v97, v24
	;; [unrolled: 2-line block ×3, first 2 shown]
	v_fma_f16 v34, v34, v20, -v111
	v_mul_f16_e32 v96, v102, v81
	v_mul_f16_e32 v97, v32, v81
	;; [unrolled: 1-line block ×4, first 2 shown]
	v_fmac_f16_e32 v112, v100, v20
	v_fma_f16 v32, v32, v21, -v96
	v_fmac_f16_e32 v97, v102, v21
	v_fma_f16 v94, v94, v22, -v99
	v_fmac_f16_e32 v105, v103, v22
	v_add_f16_e32 v96, v29, v28
	v_add_f16_e32 v99, v28, v33
	v_sub_f16_e32 v100, v106, v108
	v_add_f16_e32 v102, v95, v106
	v_add_f16_e32 v103, v106, v108
	v_sub_f16_e32 v106, v28, v33
	;; [unrolled: 3-line block ×4, first 2 shown]
	s_wait_loadcnt 0x0
	v_lshrrev_b32_e32 v31, 16, v17
	v_lshrrev_b32_e32 v28, 16, v18
	v_add_f16_e32 v96, v96, v33
	v_fma_f16 v29, -0.5, v99, v29
	v_add_f16_e32 v99, v102, v108
	v_fmac_f16_e32 v95, -0.5, v103
	v_add_f16_e32 v102, v107, v34
	v_fmac_f16_e32 v30, -0.5, v109
	;; [unrolled: 2-line block ×3, first 2 shown]
	v_mul_f16_e32 v112, v92, v31
	v_mul_f16_e32 v34, v90, v31
	;; [unrolled: 1-line block ×4, first 2 shown]
	v_add_f16_e32 v108, v32, v94
	v_sub_f16_e32 v109, v97, v105
	v_add_f16_e32 v110, v101, v97
	v_add_f16_e32 v97, v97, v105
	v_fmamk_f16 v115, v100, 0x3aee, v29
	v_fmac_f16_e32 v29, 0xbaee, v100
	v_fmamk_f16 v100, v106, 0xbaee, v95
	v_fmac_f16_e32 v95, 0x3aee, v106
	;; [unrolled: 2-line block ×4, first 2 shown]
	v_fma_f16 v90, v90, v17, -v112
	v_fmac_f16_e32 v34, v92, v17
	v_fma_f16 v91, v91, v18, -v113
	v_fmac_f16_e32 v33, v93, v18
	v_add_f16_e32 v107, v27, v32
	v_sub_f16_e32 v32, v32, v94
	v_fmac_f16_e32 v27, -0.5, v108
	v_fmac_f16_e32 v101, -0.5, v97
	v_pack_b32_f16 v95, v29, v95
	v_add_f16_e32 v29, v90, v91
	v_pack_b32_f16 v98, v30, v98
	v_add_f16_e32 v30, v34, v33
	v_pack_b32_f16 v97, v102, v103
	v_fmamk_f16 v92, v109, 0x3aee, v27
	v_fmac_f16_e32 v27, 0xbaee, v109
	v_fmamk_f16 v93, v32, 0xbaee, v101
	v_fmac_f16_e32 v101, 0x3aee, v32
	v_sub_f16_e32 v32, v34, v33
	v_fma_f16 v29, -0.5, v29, v88
	v_sub_f16_e32 v102, v90, v91
	v_fma_f16 v30, -0.5, v30, v89
	v_add_f16_e32 v94, v107, v94
	v_add_f16_e32 v105, v110, v105
	v_pack_b32_f16 v96, v96, v99
	v_pack_b32_f16 v99, v115, v100
	;; [unrolled: 1-line block ×4, first 2 shown]
	v_fmamk_f16 v27, v32, 0x3aee, v29
	v_fmac_f16_e32 v29, 0xbaee, v32
	v_fmamk_f16 v32, v102, 0xbaee, v30
	v_fmac_f16_e32 v30, 0x3aee, v102
	v_pack_b32_f16 v94, v94, v105
	v_pack_b32_f16 v100, v106, v111
	ds_store_b32 v44, v99 offset:2000
	ds_store_b32 v44, v95 offset:4000
	ds_store_2addr_b32 v44, v96, v97 offset1:150
	ds_store_b32 v44, v94 offset:1200
	ds_store_2addr_b32 v87, v100, v92 offset0:10 offset1:160
	ds_store_2addr_b32 v104, v98, v93 offset0:62 offset1:212
	s_and_saveexec_b32 s0, vcc_lo
	s_cbranch_execz .LBB0_5
; %bb.4:
	v_add_f16_e32 v34, v89, v34
	v_add_f16_e32 v87, v88, v90
	s_delay_alu instid0(VALU_DEP_2) | instskip(NEXT) | instid1(VALU_DEP_2)
	v_add_f16_e32 v33, v34, v33
	v_add_f16_e32 v34, v87, v91
	v_perm_b32 v87, v30, v29, 0x5040100
	s_delay_alu instid0(VALU_DEP_2)
	v_pack_b32_f16 v33, v34, v33
	v_perm_b32 v34, v32, v27, 0x5040100
	ds_store_b32 v44, v33 offset:1800
	ds_store_b32 v44, v34 offset:3800
	;; [unrolled: 1-line block ×3, first 2 shown]
.LBB0_5:
	s_wait_alu 0xfffe
	s_or_b32 exec_lo, exec_lo, s0
	global_wb scope:SCOPE_SE
	s_wait_dscnt 0x0
	s_barrier_signal -1
	s_barrier_wait -1
	global_inv scope:SCOPE_SE
	global_load_b32 v25, v[25:26], off offset:6000
	v_lshlrev_b32_e32 v26, 2, v48
	s_add_nc_u64 s[0:1], s[8:9], 0x1770
	s_clause 0x8
	global_load_b32 v97, v26, s[0:1] offset:600
	global_load_b32 v98, v26, s[0:1] offset:1200
	;; [unrolled: 1-line block ×9, first 2 shown]
	ds_load_2addr_b32 v[87:88], v44 offset1:150
	v_add_nc_u32_e32 v106, 0x200, v44
	v_add_nc_u32_e32 v107, 0x600, v44
	;; [unrolled: 1-line block ×4, first 2 shown]
	s_wait_dscnt 0x0
	v_lshrrev_b32_e32 v26, 16, v87
	s_wait_loadcnt 0x8
	v_lshrrev_b32_e32 v109, 16, v97
	s_wait_loadcnt 0x7
	v_lshrrev_b32_e32 v111, 16, v98
	v_lshrrev_b32_e32 v33, 16, v25
	s_wait_loadcnt 0x6
	v_lshrrev_b32_e32 v113, 16, v99
	s_wait_loadcnt 0x5
	;; [unrolled: 2-line block ×3, first 2 shown]
	v_lshrrev_b32_e32 v115, 16, v101
	v_mul_f16_e32 v34, v26, v33
	v_mul_f16_e32 v33, v87, v33
	s_wait_loadcnt 0x0
	v_lshrrev_b32_e32 v116, 16, v105
	s_delay_alu instid0(VALU_DEP_3) | instskip(NEXT) | instid1(VALU_DEP_3)
	v_fma_f16 v87, v87, v25, -v34
	v_fmac_f16_e32 v33, v26, v25
	v_add_nc_u32_e32 v25, 0x400, v44
	v_add_nc_u32_e32 v34, 0x800, v44
	;; [unrolled: 1-line block ×3, first 2 shown]
	s_delay_alu instid0(VALU_DEP_4)
	v_pack_b32_f16 v87, v87, v33
	v_add_nc_u32_e32 v33, 0x1200, v44
	ds_store_b32 v44, v87
	ds_load_2addr_b32 v[89:90], v25 offset0:44 offset1:194
	ds_load_2addr_b32 v[91:92], v34 offset0:88 offset1:238
	;; [unrolled: 1-line block ×4, first 2 shown]
	v_lshrrev_b32_e32 v87, 16, v88
	s_delay_alu instid0(VALU_DEP_1) | instskip(SKIP_1) | instid1(VALU_DEP_2)
	v_mul_f16_e32 v112, v87, v109
	v_mul_f16_e32 v109, v88, v109
	v_fma_f16 v88, v88, v97, -v112
	s_delay_alu instid0(VALU_DEP_2) | instskip(SKIP_3) | instid1(VALU_DEP_4)
	v_fmac_f16_e32 v109, v87, v97
	v_lshrrev_b32_e32 v87, 16, v102
	v_lshrrev_b32_e32 v97, 16, v103
	;; [unrolled: 1-line block ×3, first 2 shown]
	v_pack_b32_f16 v88, v88, v109
	s_wait_dscnt 0x3
	v_lshrrev_b32_e32 v109, 16, v89
	v_mul_f16_e32 v117, v89, v111
	s_wait_dscnt 0x2
	v_lshrrev_b32_e32 v118, 16, v91
	v_lshrrev_b32_e32 v124, 16, v90
	s_wait_dscnt 0x1
	v_lshrrev_b32_e32 v120, 16, v93
	v_lshrrev_b32_e32 v126, 16, v92
	;; [unrolled: 3-line block ×3, first 2 shown]
	v_lshrrev_b32_e32 v130, 16, v96
	v_mul_f16_e32 v111, v109, v111
	v_mul_f16_e32 v119, v91, v113
	;; [unrolled: 1-line block ×3, first 2 shown]
	v_fmac_f16_e32 v117, v109, v98
	v_mul_f16_e32 v109, v118, v113
	v_mul_f16_e32 v87, v124, v87
	;; [unrolled: 1-line block ×7, first 2 shown]
	v_mul_f16_e64 v129, v94, v112
	v_mul_f16_e32 v114, v122, v115
	v_mul_f16_e64 v112, v128, v112
	v_mul_f16_e64 v131, v96, v116
	;; [unrolled: 1-line block ×3, first 2 shown]
	v_fma_f16 v89, v89, v98, -v111
	v_fmac_f16_e32 v119, v118, v99
	v_fmac_f16_e32 v125, v124, v102
	v_fma_f16 v91, v91, v99, -v109
	v_fma_f16 v87, v90, v102, -v87
	v_fmac_f16_e32 v121, v120, v100
	v_fmac_f16_e32 v127, v126, v103
	v_fma_f16 v93, v93, v100, -v113
	v_fma_f16 v90, v92, v103, -v97
	v_fmac_f16_e32 v123, v122, v101
	v_fmac_f16_e64 v129, v128, v104
	v_fma_f16 v95, v95, v101, -v114
	v_fma_f16 v92, v94, v104, -v112
	v_fmac_f16_e64 v131, v130, v105
	v_fma_f16 v94, v96, v105, -v115
	v_pack_b32_f16 v89, v89, v117
	v_pack_b32_f16 v91, v91, v119
	;; [unrolled: 1-line block ×8, first 2 shown]
	ds_store_2addr_b32 v106, v88, v89 offset0:22 offset1:172
	ds_store_2addr_b32 v107, v87, v91 offset0:66 offset1:216
	ds_store_2addr_b32 v108, v90, v93 offset0:46 offset1:196
	ds_store_2addr_b32 v110, v92, v95 offset0:26 offset1:176
	ds_store_b32 v44, v94 offset:5400
	global_wb scope:SCOPE_SE
	s_wait_dscnt 0x0
	s_barrier_signal -1
	s_barrier_wait -1
	global_inv scope:SCOPE_SE
	ds_load_2addr_b32 v[87:88], v44 offset1:150
	ds_load_2addr_b32 v[89:90], v25 offset0:44 offset1:194
	ds_load_2addr_b32 v[91:92], v34 offset0:88 offset1:238
	;; [unrolled: 1-line block ×4, first 2 shown]
	global_wb scope:SCOPE_SE
	s_wait_dscnt 0x0
	s_barrier_signal -1
	s_barrier_wait -1
	global_inv scope:SCOPE_SE
	v_pk_add_f16 v97, v88, v90
	v_pk_add_f16 v98, v87, v89
	;; [unrolled: 1-line block ×3, first 2 shown]
	v_pk_add_f16 v100, v89, v95 neg_lo:[0,1] neg_hi:[0,1]
	v_pk_add_f16 v101, v91, v93 neg_lo:[0,1] neg_hi:[0,1]
	v_pk_add_f16 v104, v89, v95
	v_pk_add_f16 v102, v89, v91 neg_lo:[0,1] neg_hi:[0,1]
	v_pk_add_f16 v103, v95, v93 neg_lo:[0,1] neg_hi:[0,1]
	v_pk_add_f16 v106, v92, v94
	v_pk_add_f16 v107, v90, v96 neg_lo:[0,1] neg_hi:[0,1]
	v_pk_add_f16 v89, v91, v89 neg_lo:[0,1] neg_hi:[0,1]
	;; [unrolled: 1-line block ×4, first 2 shown]
	v_pk_add_f16 v111, v90, v96
	v_pk_add_f16 v109, v90, v92 neg_lo:[0,1] neg_hi:[0,1]
	v_pk_add_f16 v90, v92, v90 neg_lo:[0,1] neg_hi:[0,1]
	v_pk_add_f16 v92, v97, v92
	v_pk_add_f16 v91, v98, v91
	v_pk_fma_f16 v97, v99, 0.5, v87 op_sel_hi:[1,0,1] neg_lo:[1,0,0] neg_hi:[1,0,0]
	v_pk_mul_f16 v98, 0x3b9c, v100 op_sel_hi:[0,1]
	v_pk_mul_f16 v99, 0x38b4, v101 op_sel_hi:[0,1]
	v_pk_fma_f16 v87, v104, 0.5, v87 op_sel_hi:[1,0,1] neg_lo:[1,0,0] neg_hi:[1,0,0]
	v_pk_mul_f16 v101, 0x3b9c, v101 op_sel_hi:[0,1]
	v_pk_add_f16 v102, v102, v103
	v_pk_fma_f16 v103, v106, 0.5, v88 op_sel_hi:[1,0,1] neg_lo:[1,0,0] neg_hi:[1,0,0]
	v_pk_mul_f16 v104, 0x3b9c, v107 op_sel_hi:[0,1]
	v_pk_add_f16 v89, v89, v105
	v_pk_mul_f16 v105, 0x38b4, v108 op_sel_hi:[0,1]
	v_pk_fma_f16 v88, v111, 0.5, v88 op_sel_hi:[1,0,1] neg_lo:[1,0,0] neg_hi:[1,0,0]
	v_pk_mul_f16 v108, 0x3b9c, v108 op_sel_hi:[0,1]
	v_pk_add_f16 v110, v96, v94 neg_lo:[0,1] neg_hi:[0,1]
	v_pk_add_f16 v112, v94, v96 neg_lo:[0,1] neg_hi:[0,1]
	v_pk_add_f16 v92, v92, v94
	v_pk_add_f16 v91, v91, v93
	v_pk_add_f16 v93, v97, v98 op_sel:[0,1] op_sel_hi:[1,0] neg_lo:[0,1] neg_hi:[0,1]
	v_pk_add_f16 v94, v97, v98 op_sel:[0,1] op_sel_hi:[1,0]
	v_pk_mul_f16 v100, 0x38b4, v100 op_sel_hi:[0,1]
	v_pk_add_f16 v97, v87, v101 op_sel:[0,1] op_sel_hi:[1,0]
	v_pk_add_f16 v87, v87, v101 op_sel:[0,1] op_sel_hi:[1,0] neg_lo:[0,1] neg_hi:[0,1]
	v_pk_add_f16 v98, v103, v104 op_sel:[0,1] op_sel_hi:[1,0] neg_lo:[0,1] neg_hi:[0,1]
	v_pk_add_f16 v101, v103, v104 op_sel:[0,1] op_sel_hi:[1,0]
	v_pk_mul_f16 v107, 0x38b4, v107 op_sel_hi:[0,1]
	v_pk_add_f16 v103, v88, v108 op_sel:[0,1] op_sel_hi:[1,0]
	v_pk_add_f16 v88, v88, v108 op_sel:[0,1] op_sel_hi:[1,0] neg_lo:[0,1] neg_hi:[0,1]
	v_pk_add_f16 v93, v93, v99 op_sel:[0,1] op_sel_hi:[1,0] neg_lo:[0,1] neg_hi:[0,1]
	v_pk_add_f16 v94, v94, v99 op_sel:[0,1] op_sel_hi:[1,0]
	v_pk_add_f16 v91, v91, v95
	v_pk_add_f16 v95, v97, v100 op_sel:[0,1] op_sel_hi:[1,0] neg_lo:[0,1] neg_hi:[0,1]
	v_pk_add_f16 v87, v87, v100 op_sel:[0,1] op_sel_hi:[1,0]
	v_pk_add_f16 v92, v92, v96
	v_pk_add_f16 v96, v98, v105 op_sel:[0,1] op_sel_hi:[1,0] neg_lo:[0,1] neg_hi:[0,1]
	v_pk_add_f16 v97, v101, v105 op_sel:[0,1] op_sel_hi:[1,0]
	v_pk_add_f16 v98, v103, v107 op_sel:[0,1] op_sel_hi:[1,0] neg_lo:[0,1] neg_hi:[0,1]
	v_pk_add_f16 v88, v88, v107 op_sel:[0,1] op_sel_hi:[1,0]
	v_bfi_b32 v99, 0xffff, v93, v94
	v_bfi_b32 v100, 0xffff, v95, v87
	;; [unrolled: 1-line block ×4, first 2 shown]
	v_pk_add_f16 v106, v109, v110
	v_bfi_b32 v94, 0xffff, v96, v97
	v_pk_add_f16 v90, v90, v112
	v_bfi_b32 v95, 0xffff, v98, v88
	v_bfi_b32 v88, 0xffff, v88, v98
	;; [unrolled: 1-line block ×3, first 2 shown]
	v_pk_fma_f16 v97, 0x34f2, v102, v99 op_sel_hi:[0,1,1]
	v_pk_fma_f16 v98, 0x34f2, v89, v100 op_sel_hi:[0,1,1]
	;; [unrolled: 1-line block ×8, first 2 shown]
	ds_store_2addr_b32 v60, v91, v97 offset1:1
	ds_store_2addr_b32 v60, v98, v87 offset0:2 offset1:3
	ds_store_b32 v60, v89 offset:16
	ds_store_2addr_b32 v59, v92, v93 offset1:1
	ds_store_2addr_b32 v59, v94, v88 offset0:2 offset1:3
	ds_store_b32 v59, v90 offset:16
	global_wb scope:SCOPE_SE
	s_wait_dscnt 0x0
	s_barrier_signal -1
	s_barrier_wait -1
	global_inv scope:SCOPE_SE
	ds_load_2addr_b32 v[59:60], v44 offset1:150
	ds_load_2addr_b32 v[87:88], v25 offset0:44 offset1:194
	ds_load_2addr_b32 v[89:90], v34 offset0:88 offset1:238
	;; [unrolled: 1-line block ×4, first 2 shown]
	global_wb scope:SCOPE_SE
	s_wait_dscnt 0x0
	s_barrier_signal -1
	s_barrier_wait -1
	global_inv scope:SCOPE_SE
	v_lshrrev_b32_e32 v96, 16, v60
	v_lshrrev_b32_e32 v97, 16, v87
	v_lshrrev_b32_e32 v98, 16, v88
	v_lshrrev_b32_e32 v99, 16, v89
	v_lshrrev_b32_e32 v100, 16, v90
	v_lshrrev_b32_e32 v101, 16, v91
	v_lshrrev_b32_e32 v102, 16, v92
	v_lshrrev_b32_e32 v103, 16, v93
	v_lshrrev_b32_e32 v104, 16, v94
	v_mul_f16_e32 v106, v70, v87
	v_mul_f16_e32 v108, v68, v89
	;; [unrolled: 1-line block ×9, first 2 shown]
	v_lshrrev_b32_e32 v95, 16, v59
	v_mul_f16_e32 v71, v71, v96
	v_mul_f16_e32 v70, v70, v97
	v_fma_f16 v97, v1, v97, -v106
	v_mul_f16_e32 v69, v69, v98
	v_mul_f16_e32 v68, v68, v99
	v_fma_f16 v99, v3, v99, -v108
	v_mul_f16_e32 v67, v67, v100
	v_fma_f16 v100, v4, v100, -v109
	;; [unrolled: 2-line block ×6, first 2 shown]
	v_fma_f16 v98, v2, v98, -v107
	v_fma_f16 v104, v57, v104, -v113
	v_fmac_f16_e32 v71, v0, v60
	v_fmac_f16_e32 v69, v2, v88
	;; [unrolled: 1-line block ×8, first 2 shown]
	v_add_f16_e32 v2, v95, v97
	v_add_f16_e32 v3, v99, v101
	v_sub_f16_e32 v4, v97, v99
	v_sub_f16_e32 v5, v103, v101
	v_add_f16_e32 v6, v97, v103
	v_sub_f16_e32 v7, v99, v97
	v_sub_f16_e32 v57, v101, v103
	v_add_f16_e32 v89, v100, v102
	v_add_f16_e32 v88, v96, v98
	;; [unrolled: 1-line block ×3, first 2 shown]
	v_fmac_f16_e32 v70, v1, v87
	v_add_f16_e32 v2, v2, v99
	v_fma_f16 v3, -0.5, v3, v95
	v_add_f16_e32 v4, v4, v5
	v_fmac_f16_e32 v95, -0.5, v6
	v_add_f16_e32 v5, v7, v57
	v_add_f16_e32 v6, v71, v69
	;; [unrolled: 1-line block ×3, first 2 shown]
	v_sub_f16_e32 v57, v69, v67
	v_add_f16_e32 v111, v69, v63
	v_sub_f16_e32 v112, v67, v69
	v_fma_f16 v89, -0.5, v89, v96
	v_sub_f16_e32 v69, v69, v63
	v_sub_f16_e32 v1, v99, v101
	;; [unrolled: 1-line block ×6, first 2 shown]
	v_add_f16_e32 v98, v68, v66
	v_sub_f16_e32 v99, v68, v66
	v_add_f16_e32 v88, v88, v100
	v_sub_f16_e32 v100, v67, v65
	v_fmac_f16_e32 v96, -0.5, v92
	v_sub_f16_e32 v0, v97, v103
	v_sub_f16_e32 v91, v104, v102
	v_add_f16_e32 v97, v59, v70
	v_add_f16_e32 v107, v70, v64
	;; [unrolled: 1-line block ×4, first 2 shown]
	v_fma_f16 v7, -0.5, v7, v71
	v_fmamk_f16 v101, v69, 0x3b9c, v89
	v_sub_f16_e32 v94, v102, v104
	v_sub_f16_e32 v105, v70, v68
	v_sub_f16_e32 v108, v68, v70
	v_sub_f16_e32 v70, v70, v64
	v_fma_f16 v92, -0.5, v98, v59
	v_fmamk_f16 v98, v99, 0xbb9c, v95
	v_fmac_f16_e32 v95, 0x3b9c, v99
	v_fmac_f16_e32 v71, -0.5, v111
	v_add_f16_e32 v88, v88, v102
	v_fmamk_f16 v102, v100, 0xbb9c, v96
	v_fmac_f16_e32 v96, 0x3b9c, v100
	v_fmac_f16_e32 v89, 0xbb9c, v69
	v_sub_f16_e32 v106, v64, v66
	v_sub_f16_e32 v110, v63, v65
	;; [unrolled: 1-line block ×3, first 2 shown]
	v_add_f16_e32 v90, v90, v91
	v_add_f16_e32 v68, v97, v68
	v_fmac_f16_e32 v59, -0.5, v107
	v_add_f16_e32 v6, v6, v65
	v_fmamk_f16 v65, v60, 0xbb9c, v7
	v_fmac_f16_e32 v101, 0x38b4, v100
	v_add_f16_e32 v91, v93, v94
	v_fmamk_f16 v97, v70, 0x3b9c, v3
	v_fmac_f16_e32 v3, 0xbb9c, v70
	v_fmac_f16_e32 v98, 0x38b4, v70
	;; [unrolled: 1-line block ×4, first 2 shown]
	v_fmamk_f16 v70, v87, 0x3b9c, v71
	v_fmac_f16_e32 v71, 0xbb9c, v87
	v_fmac_f16_e32 v102, 0x38b4, v69
	;; [unrolled: 1-line block ×4, first 2 shown]
	v_sub_f16_e32 v109, v66, v64
	v_add_f16_e32 v93, v105, v106
	v_add_f16_e32 v57, v57, v110
	;; [unrolled: 1-line block ×3, first 2 shown]
	v_fmamk_f16 v68, v0, 0xbb9c, v92
	v_fmamk_f16 v105, v1, 0x3b9c, v59
	v_fmac_f16_e32 v59, 0xbb9c, v1
	v_fmac_f16_e32 v65, 0xb8b4, v87
	;; [unrolled: 1-line block ×3, first 2 shown]
	v_add_f16_e32 v67, v112, v113
	v_fmac_f16_e32 v7, 0x38b4, v87
	v_fmac_f16_e32 v70, 0xb8b4, v60
	;; [unrolled: 1-line block ×7, first 2 shown]
	v_add_f16_e32 v2, v2, v103
	v_fmac_f16_e32 v97, 0x38b4, v99
	v_fmac_f16_e32 v3, 0xb8b4, v99
	v_add_f16_e32 v88, v88, v104
	v_add_f16_e32 v64, v66, v64
	v_fmac_f16_e32 v68, 0xb8b4, v1
	v_fmac_f16_e32 v105, 0xb8b4, v0
	;; [unrolled: 1-line block ×5, first 2 shown]
	v_add_f16_e32 v0, v6, v63
	v_fmac_f16_e32 v65, 0x34f2, v57
	v_mul_f16_e32 v5, 0xb8b4, v101
	v_mul_f16_e32 v63, 0x3a79, v101
	v_add_f16_e32 v94, v108, v109
	v_fmac_f16_e32 v7, 0x34f2, v57
	v_fmac_f16_e32 v70, 0x34f2, v67
	;; [unrolled: 1-line block ×3, first 2 shown]
	v_mul_f16_e32 v6, 0xbb9c, v102
	v_mul_f16_e32 v57, 0xbb9c, v96
	;; [unrolled: 1-line block ×4, first 2 shown]
	v_fmac_f16_e32 v92, 0x38b4, v1
	v_mul_f16_e32 v60, 0xb8b4, v89
	v_mul_f16_e32 v69, 0xba79, v89
	v_fmac_f16_e32 v97, 0x34f2, v4
	v_fmac_f16_e32 v3, 0x34f2, v4
	v_add_f16_e32 v1, v2, v88
	v_sub_f16_e32 v2, v2, v88
	v_fmac_f16_e32 v68, 0x34f2, v93
	v_add_f16_e32 v4, v64, v0
	v_sub_f16_e32 v0, v64, v0
	v_fmac_f16_e32 v5, 0x3a79, v65
	v_fmac_f16_e32 v63, 0x38b4, v65
	;; [unrolled: 1-line block ×11, first 2 shown]
	v_pack_b32_f16 v0, v0, v2
	v_add_f16_e32 v2, v68, v5
	v_add_f16_e32 v65, v97, v63
	v_pack_b32_f16 v1, v4, v1
	v_add_f16_e32 v4, v105, v6
	v_add_f16_e32 v7, v59, v57
	;; [unrolled: 1-line block ×6, first 2 shown]
	v_sub_f16_e32 v5, v68, v5
	v_sub_f16_e32 v6, v105, v6
	;; [unrolled: 1-line block ×8, first 2 shown]
	v_pack_b32_f16 v2, v2, v65
	v_pack_b32_f16 v4, v4, v70
	;; [unrolled: 1-line block ×8, first 2 shown]
	ds_store_2addr_b32 v58, v1, v2 offset1:5
	ds_store_2addr_b32 v58, v4, v7 offset0:10 offset1:15
	ds_store_2addr_b32 v58, v64, v0 offset0:20 offset1:25
	;; [unrolled: 1-line block ×4, first 2 shown]
	global_wb scope:SCOPE_SE
	s_wait_dscnt 0x0
	s_barrier_signal -1
	s_barrier_wait -1
	global_inv scope:SCOPE_SE
	ds_load_2addr_b32 v[0:1], v44 offset1:150
	ds_load_2addr_b32 v[2:3], v25 offset0:44 offset1:194
	ds_load_2addr_b32 v[4:5], v34 offset0:88 offset1:238
	;; [unrolled: 1-line block ×4, first 2 shown]
	global_wb scope:SCOPE_SE
	s_wait_dscnt 0x0
	s_barrier_signal -1
	s_barrier_wait -1
	global_inv scope:SCOPE_SE
	v_lshrrev_b32_e32 v58, 16, v1
	v_lshrrev_b32_e32 v59, 16, v2
	;; [unrolled: 1-line block ×8, first 2 shown]
	v_mul_f16_e32 v69, v86, v1
	v_mul_f16_e32 v70, v83, v2
	;; [unrolled: 1-line block ×6, first 2 shown]
	v_lshrrev_b32_e32 v57, 16, v0
	v_lshrrev_b32_e32 v68, 16, v34
	v_mul_f16_e32 v88, v79, v5
	v_mul_f16_e32 v90, v76, v7
	;; [unrolled: 1-line block ×3, first 2 shown]
	v_fma_f16 v58, v8, v58, -v69
	v_mul_f16_e32 v69, v83, v59
	v_fma_f16 v59, v9, v59, -v70
	v_mul_f16_e32 v70, v82, v60
	;; [unrolled: 2-line block ×4, first 2 shown]
	v_mul_f16_e32 v77, v77, v65
	v_fma_f16 v65, v13, v65, -v89
	v_mul_f16_e32 v76, v76, v66
	v_mul_f16_e32 v75, v75, v67
	v_fma_f16 v67, v15, v67, -v91
	v_mul_f16_e32 v92, v74, v34
	v_mul_f16_e32 v74, v74, v68
	v_fmac_f16_e32 v86, v8, v1
	v_fmac_f16_e32 v69, v9, v2
	;; [unrolled: 1-line block ×8, first 2 shown]
	v_add_f16_e32 v3, v57, v59
	v_add_f16_e32 v4, v63, v65
	v_sub_f16_e32 v5, v59, v63
	v_sub_f16_e32 v6, v67, v65
	v_add_f16_e32 v7, v59, v67
	v_sub_f16_e32 v8, v63, v59
	v_sub_f16_e32 v9, v65, v67
	v_fma_f16 v68, v62, v68, -v92
	v_fmac_f16_e32 v74, v62, v34
	v_sub_f16_e32 v2, v63, v65
	v_add_f16_e32 v15, v0, v69
	v_sub_f16_e32 v34, v69, v71
	v_add_f16_e32 v62, v69, v75
	;; [unrolled: 2-line block ×3, first 2 shown]
	v_fma_f16 v4, -0.5, v4, v57
	v_sub_f16_e32 v63, v69, v75
	v_sub_f16_e32 v69, v71, v77
	v_add_f16_e32 v5, v5, v6
	v_fmac_f16_e32 v57, -0.5, v7
	v_add_f16_e32 v6, v8, v9
	v_add_f16_e32 v8, v79, v76
	v_fma_f16 v64, v12, v64, -v88
	v_fma_f16 v66, v14, v66, -v90
	v_add_f16_e32 v33, v71, v77
	v_sub_f16_e32 v10, v60, v68
	v_add_f16_e32 v7, v86, v70
	v_add_f16_e32 v87, v70, v74
	;; [unrolled: 1-line block ×3, first 2 shown]
	v_fmamk_f16 v65, v69, 0xbb9c, v57
	v_fmac_f16_e32 v57, 0x3b9c, v69
	v_fma_f16 v8, -0.5, v8, v86
	v_sub_f16_e32 v1, v59, v67
	v_add_f16_e32 v13, v64, v66
	v_add_f16_e32 v15, v15, v71
	v_fma_f16 v33, -0.5, v33, v0
	v_fmac_f16_e32 v0, -0.5, v62
	v_fmamk_f16 v62, v63, 0x3b9c, v4
	v_fmac_f16_e32 v4, 0xbb9c, v63
	v_sub_f16_e32 v11, v64, v66
	v_add_f16_e32 v14, v60, v68
	v_sub_f16_e32 v9, v70, v79
	v_sub_f16_e32 v83, v74, v76
	v_add_f16_e32 v7, v7, v79
	v_fmac_f16_e32 v86, -0.5, v87
	v_fmac_f16_e32 v65, 0x38b4, v63
	v_fmac_f16_e32 v57, 0xb8b4, v63
	v_fmamk_f16 v63, v10, 0xbb9c, v8
	v_fmac_f16_e32 v8, 0x3b9c, v10
	v_sub_f16_e32 v59, v75, v77
	v_sub_f16_e32 v82, v77, v75
	;; [unrolled: 1-line block ×3, first 2 shown]
	v_fma_f16 v13, -0.5, v13, v58
	v_sub_f16_e32 v70, v70, v74
	v_add_f16_e32 v15, v15, v77
	v_fmamk_f16 v77, v1, 0xbb9c, v33
	v_fmac_f16_e32 v33, 0x3b9c, v1
	v_fmac_f16_e32 v62, 0x38b4, v69
	;; [unrolled: 1-line block ×3, first 2 shown]
	v_add_f16_e32 v12, v58, v60
	v_sub_f16_e32 v90, v79, v76
	v_add_f16_e32 v9, v9, v83
	v_fmamk_f16 v79, v2, 0x3b9c, v0
	v_fmac_f16_e32 v0, 0xbb9c, v2
	v_add_f16_e32 v3, v3, v67
	v_add_f16_e32 v7, v7, v76
	v_fmamk_f16 v67, v11, 0x3b9c, v86
	v_fmac_f16_e32 v86, 0xbb9c, v11
	v_fmac_f16_e32 v63, 0xb8b4, v11
	;; [unrolled: 1-line block ×3, first 2 shown]
	v_fmac_f16_e32 v58, -0.5, v14
	v_fmac_f16_e32 v77, 0xb8b4, v2
	v_fmac_f16_e32 v33, 0x38b4, v2
	;; [unrolled: 1-line block ×6, first 2 shown]
	v_fmamk_f16 v2, v70, 0x3b9c, v13
	v_sub_f16_e32 v5, v60, v64
	v_sub_f16_e32 v6, v68, v66
	v_fmac_f16_e32 v79, 0xb8b4, v1
	v_fmac_f16_e32 v0, 0x38b4, v1
	v_add_f16_e32 v1, v7, v74
	v_fmac_f16_e32 v67, 0xb8b4, v10
	v_fmac_f16_e32 v86, 0x38b4, v10
	;; [unrolled: 1-line block ×4, first 2 shown]
	v_fmamk_f16 v7, v90, 0xbb9c, v58
	v_sub_f16_e32 v9, v64, v60
	v_sub_f16_e32 v10, v66, v68
	v_fmac_f16_e32 v58, 0x3b9c, v90
	v_fmac_f16_e32 v13, 0xbb9c, v70
	;; [unrolled: 1-line block ×3, first 2 shown]
	v_add_f16_e32 v5, v5, v6
	v_sub_f16_e32 v89, v76, v74
	v_fmac_f16_e32 v7, 0x38b4, v70
	v_add_f16_e32 v6, v9, v10
	v_fmac_f16_e32 v58, 0xb8b4, v70
	v_add_f16_e32 v9, v12, v64
	v_fmac_f16_e32 v13, 0xb8b4, v90
	v_fmac_f16_e32 v2, 0x34f2, v5
	v_add_f16_e32 v71, v88, v89
	v_fmac_f16_e32 v7, 0x34f2, v6
	;; [unrolled: 3-line block ×3, first 2 shown]
	v_add_f16_e32 v34, v34, v59
	v_mul_f16_e32 v9, 0xb8b4, v2
	v_mul_f16_e32 v2, 0x3a79, v2
	v_add_f16_e32 v59, v80, v82
	v_fmac_f16_e32 v67, 0x34f2, v71
	v_fmac_f16_e32 v86, 0x34f2, v71
	v_mul_f16_e32 v10, 0xbb9c, v7
	v_mul_f16_e32 v11, 0xbb9c, v58
	;; [unrolled: 1-line block ×4, first 2 shown]
	v_add_f16_e32 v5, v6, v68
	v_mul_f16_e32 v6, 0xb8b4, v13
	v_mul_f16_e32 v13, 0xba79, v13
	v_add_f16_e32 v15, v15, v75
	v_fmac_f16_e32 v77, 0x34f2, v34
	v_fmac_f16_e32 v9, 0x3a79, v63
	;; [unrolled: 1-line block ×12, first 2 shown]
	v_add_f16_e32 v12, v15, v1
	v_add_f16_e32 v14, v77, v9
	;; [unrolled: 1-line block ×10, first 2 shown]
	v_sub_f16_e32 v1, v15, v1
	v_sub_f16_e32 v3, v3, v5
	;; [unrolled: 1-line block ×10, first 2 shown]
	v_pack_b32_f16 v4, v12, v63
	v_pack_b32_f16 v7, v14, v64
	;; [unrolled: 1-line block ×8, first 2 shown]
	v_add_nc_u32_e32 v5, 0x400, v61
	v_add_nc_u32_e32 v10, 0xa00, v44
	v_pack_b32_f16 v0, v0, v6
	v_pack_b32_f16 v6, v8, v9
	ds_store_2addr_b32 v61, v4, v7 offset1:50
	ds_store_2addr_b32 v61, v11, v12 offset0:100 offset1:150
	ds_store_2addr_b32 v61, v13, v1 offset0:200 offset1:250
	;; [unrolled: 1-line block ×4, first 2 shown]
	global_wb scope:SCOPE_SE
	s_wait_dscnt 0x0
	s_barrier_signal -1
	s_barrier_wait -1
	global_inv scope:SCOPE_SE
	ds_load_2addr_b32 v[2:3], v44 offset1:150
	ds_load_2addr_b32 v[0:1], v25 offset0:44 offset1:244
	ds_load_2addr_b32 v[6:7], v26 offset0:104 offset1:254
	;; [unrolled: 1-line block ×3, first 2 shown]
	ds_load_b32 v11, v44 offset:5200
	s_and_saveexec_b32 s0, vcc_lo
	s_cbranch_execz .LBB0_7
; %bb.6:
	ds_load_b32 v8, v44 offset:1800
	ds_load_b32 v27, v44 offset:3800
	;; [unrolled: 1-line block ×3, first 2 shown]
	s_wait_dscnt 0x2
	v_lshrrev_b32_e32 v9, 16, v8
	s_wait_dscnt 0x1
	v_lshrrev_b32_e32 v32, 16, v27
	;; [unrolled: 2-line block ×3, first 2 shown]
.LBB0_7:
	s_wait_alu 0xfffe
	s_or_b32 exec_lo, exec_lo, s0
	s_wait_dscnt 0x3
	v_lshrrev_b32_e32 v13, 16, v1
	s_wait_dscnt 0x2
	v_lshrrev_b32_e32 v14, 16, v6
	;; [unrolled: 2-line block ×3, first 2 shown]
	v_mul_f16_e32 v58, v72, v1
	v_lshrrev_b32_e32 v26, 16, v7
	v_mul_f16_e32 v34, v72, v13
	v_mul_f16_e32 v60, v85, v14
	v_lshrrev_b32_e32 v57, 16, v5
	v_fma_f16 v13, v23, v13, -v58
	s_wait_dscnt 0x0
	v_lshrrev_b32_e32 v59, 16, v11
	v_fmac_f16_e32 v34, v23, v1
	v_mul_f16_e32 v1, v85, v6
	v_mul_f16_e32 v23, v84, v25
	v_fmac_f16_e32 v60, v24, v6
	v_mul_f16_e32 v6, v84, v4
	v_lshrrev_b32_e32 v12, 16, v2
	v_fma_f16 v1, v24, v14, -v1
	v_mul_f16_e32 v14, v78, v26
	v_fmac_f16_e32 v23, v19, v4
	v_mul_f16_e32 v4, v78, v7
	v_fma_f16 v6, v19, v25, -v6
	v_mul_f16_e32 v19, v81, v57
	v_fmac_f16_e32 v14, v20, v7
	v_mul_f16_e32 v7, v81, v5
	;; [unrolled: 4-line block ×3, first 2 shown]
	v_fma_f16 v7, v21, v57, -v7
	v_add_f16_e32 v21, v34, v60
	v_fmac_f16_e32 v20, v22, v11
	v_add_f16_e32 v11, v2, v34
	v_fma_f16 v5, v22, v59, -v5
	v_add_f16_e32 v22, v13, v1
	v_fma_f16 v2, -0.5, v21, v2
	v_sub_f16_e32 v21, v13, v1
	v_add_f16_e32 v13, v12, v13
	v_lshrrev_b32_e32 v15, 16, v3
	v_fmac_f16_e32 v12, -0.5, v22
	v_sub_f16_e32 v22, v34, v60
	v_fmamk_f16 v24, v21, 0xbaee, v2
	v_add_f16_e32 v1, v13, v1
	v_add_f16_e32 v13, v23, v14
	v_fmac_f16_e32 v2, 0x3aee, v21
	v_fmamk_f16 v21, v22, 0x3aee, v12
	v_add_f16_e32 v25, v3, v23
	v_fmac_f16_e32 v12, 0xbaee, v22
	v_add_f16_e32 v22, v6, v4
	v_fmac_f16_e32 v3, -0.5, v13
	v_sub_f16_e32 v13, v6, v4
	v_add_f16_e32 v6, v15, v6
	v_add_f16_e32 v25, v25, v14
	v_fmac_f16_e32 v15, -0.5, v22
	v_sub_f16_e32 v14, v23, v14
	v_lshrrev_b32_e32 v33, 16, v0
	v_add_f16_e32 v4, v6, v4
	v_add_f16_e32 v6, v19, v20
	v_fmamk_f16 v22, v13, 0xbaee, v3
	v_fmac_f16_e32 v3, 0x3aee, v13
	v_fmamk_f16 v13, v14, 0x3aee, v15
	v_fmac_f16_e32 v15, 0xbaee, v14
	v_add_f16_e32 v14, v7, v5
	v_add_f16_e32 v23, v0, v19
	v_fmac_f16_e32 v0, -0.5, v6
	v_sub_f16_e32 v6, v7, v5
	v_add_f16_e32 v7, v33, v7
	v_fmac_f16_e32 v33, -0.5, v14
	v_sub_f16_e32 v14, v19, v20
	v_add_f16_e32 v11, v11, v60
	v_add_f16_e32 v19, v23, v20
	;; [unrolled: 1-line block ×3, first 2 shown]
	v_fmamk_f16 v20, v6, 0xbaee, v0
	v_fmac_f16_e32 v0, 0x3aee, v6
	v_fmamk_f16 v6, v14, 0x3aee, v33
	v_fmac_f16_e32 v33, 0xbaee, v14
	v_pack_b32_f16 v7, v24, v21
	v_pack_b32_f16 v2, v2, v12
	v_pack_b32_f16 v1, v11, v1
	v_pack_b32_f16 v4, v25, v4
	v_pack_b32_f16 v5, v19, v5
	v_pack_b32_f16 v11, v22, v13
	v_pack_b32_f16 v6, v20, v6
	v_pack_b32_f16 v3, v3, v15
	v_pack_b32_f16 v0, v0, v33
	v_add_nc_u32_e32 v12, 0x1100, v44
	ds_store_b32 v44, v7 offset:2000
	ds_store_b32 v44, v2 offset:4000
	ds_store_2addr_b32 v44, v1, v4 offset1:150
	ds_store_b32 v44, v5 offset:1200
	ds_store_2addr_b32 v10, v11, v6 offset0:10 offset1:160
	ds_store_2addr_b32 v12, v3, v0 offset0:62 offset1:212
	s_and_saveexec_b32 s0, vcc_lo
	s_cbranch_execz .LBB0_9
; %bb.8:
	v_mul_f16_e32 v0, v31, v27
	v_mul_f16_e32 v1, v28, v29
	v_mul_f16_e32 v2, v31, v32
	v_mul_f16_e32 v3, v28, v30
	s_delay_alu instid0(VALU_DEP_4) | instskip(NEXT) | instid1(VALU_DEP_4)
	v_fma_f16 v0, v17, v32, -v0
	v_fma_f16 v1, v18, v30, -v1
	s_delay_alu instid0(VALU_DEP_4) | instskip(NEXT) | instid1(VALU_DEP_4)
	v_fmac_f16_e32 v2, v17, v27
	v_fmac_f16_e32 v3, v18, v29
	s_delay_alu instid0(VALU_DEP_4) | instskip(NEXT) | instid1(VALU_DEP_4)
	v_add_f16_e32 v7, v9, v0
	v_add_f16_e32 v4, v0, v1
	v_sub_f16_e32 v0, v0, v1
	s_delay_alu instid0(VALU_DEP_4)
	v_add_f16_e32 v6, v2, v3
	v_sub_f16_e32 v5, v2, v3
	v_add_f16_e32 v2, v8, v2
	v_fma_f16 v4, -0.5, v4, v9
	v_add_f16_e32 v1, v7, v1
	v_fma_f16 v6, -0.5, v6, v8
	s_delay_alu instid0(VALU_DEP_4) | instskip(NEXT) | instid1(VALU_DEP_4)
	v_add_f16_e32 v2, v2, v3
	v_fmamk_f16 v3, v5, 0xbaee, v4
	v_fmac_f16_e32 v4, 0x3aee, v5
	s_delay_alu instid0(VALU_DEP_4) | instskip(SKIP_2) | instid1(VALU_DEP_3)
	v_fmamk_f16 v5, v0, 0x3aee, v6
	v_fmac_f16_e32 v6, 0xbaee, v0
	v_pack_b32_f16 v0, v2, v1
	v_pack_b32_f16 v2, v5, v3
	s_delay_alu instid0(VALU_DEP_3)
	v_pack_b32_f16 v1, v6, v4
	ds_store_b32 v44, v0 offset:1800
	ds_store_b32 v44, v1 offset:3800
	;; [unrolled: 1-line block ×3, first 2 shown]
.LBB0_9:
	s_wait_alu 0xfffe
	s_or_b32 exec_lo, exec_lo, s0
	global_wb scope:SCOPE_SE
	s_wait_dscnt 0x0
	s_barrier_signal -1
	s_barrier_wait -1
	global_inv scope:SCOPE_SE
	ds_load_2addr_b32 v[6:7], v44 offset1:150
	v_mad_co_u64_u32 v[19:20], null, s6, v16, 0
	v_add_nc_u32_e32 v0, 0x400, v44
	s_mov_b32 s8, 0xc3ece2a5
	s_mov_b32 s9, 0x3f45d867
	v_mad_co_u64_u32 v[21:22], null, s4, v48, 0
	ds_load_2addr_b32 v[3:4], v0 offset0:44 offset1:194
	v_add_nc_u32_e32 v0, 0x800, v44
	ds_load_2addr_b32 v[1:2], v0 offset0:88 offset1:238
	s_wait_dscnt 0x2
	v_lshrrev_b32_e32 v5, 16, v6
	v_mul_f16_e32 v8, v56, v6
	s_delay_alu instid0(VALU_DEP_2) | instskip(NEXT) | instid1(VALU_DEP_2)
	v_mul_f16_e32 v0, v56, v5
	v_fma_f16 v5, v52, v5, -v8
	s_wait_dscnt 0x1
	v_lshrrev_b32_e32 v10, 16, v3
	v_mul_f16_e32 v8, v55, v3
	v_fmac_f16_e32 v0, v52, v6
	v_cvt_f32_f16_e32 v5, v5
	s_delay_alu instid0(VALU_DEP_3) | instskip(NEXT) | instid1(VALU_DEP_3)
	v_fma_f16 v11, v53, v10, -v8
	v_cvt_f32_f16_e32 v0, v0
	s_delay_alu instid0(VALU_DEP_3) | instskip(SKIP_2) | instid1(VALU_DEP_3)
	v_cvt_f64_f32_e32 v[5:6], v5
	s_wait_dscnt 0x0
	v_lshrrev_b32_e32 v14, 16, v1
	v_cvt_f64_f32_e32 v[8:9], v0
	v_mul_f16_e32 v0, v55, v10
	v_cvt_f32_f16_e32 v10, v11
	s_delay_alu instid0(VALU_DEP_2) | instskip(NEXT) | instid1(VALU_DEP_2)
	v_fmac_f16_e32 v0, v53, v3
	v_cvt_f64_f32_e32 v[10:11], v10
	v_mul_f16_e32 v3, v54, v14
	s_delay_alu instid0(VALU_DEP_3) | instskip(NEXT) | instid1(VALU_DEP_2)
	v_cvt_f32_f16_e32 v0, v0
	v_fmac_f16_e32 v3, v51, v1
	v_mul_f16_e32 v1, v54, v1
	s_delay_alu instid0(VALU_DEP_3) | instskip(NEXT) | instid1(VALU_DEP_3)
	v_cvt_f64_f32_e32 v[12:13], v0
	v_cvt_f32_f16_e32 v0, v3
	s_delay_alu instid0(VALU_DEP_3) | instskip(NEXT) | instid1(VALU_DEP_2)
	v_fma_f16 v1, v51, v14, -v1
	v_cvt_f64_f32_e32 v[14:15], v0
	s_delay_alu instid0(VALU_DEP_2) | instskip(SKIP_1) | instid1(VALU_DEP_2)
	v_cvt_f32_f16_e32 v3, v1
	v_add_nc_u32_e32 v0, 0xe00, v44
	v_cvt_f64_f32_e32 v[17:18], v3
	v_mov_b32_e32 v3, v20
	ds_load_2addr_b32 v[0:1], v0 offset0:4 offset1:154
	s_wait_alu 0xfffe
	v_mul_f64_e32 v[5:6], s[8:9], v[5:6]
	v_mul_f64_e32 v[8:9], s[8:9], v[8:9]
	;; [unrolled: 1-line block ×5, first 2 shown]
	v_and_or_b32 v5, 0x1ff, v6, v5
	v_and_or_b32 v8, 0x1ff, v9, v8
	v_bfe_u32 v26, v9, 20, 11
	v_lshrrev_b32_e32 v25, 8, v9
	v_lshrrev_b32_e32 v9, 16, v9
	s_delay_alu instid0(VALU_DEP_3)
	v_sub_nc_u32_e32 v30, 0x3f1, v26
	v_bfe_u32 v29, v11, 20, 11
	v_mov_b32_e32 v20, v22
	v_mad_co_u64_u32 v[22:23], null, s7, v16, v[3:4]
	s_wait_dscnt 0x0
	v_lshrrev_b32_e32 v3, 16, v0
	v_sub_nc_u32_e32 v32, 0x3f1, v29
	v_add_nc_u32_e32 v29, 0xfffffc10, v29
	v_mad_co_u64_u32 v[23:24], null, s5, v48, v[20:21]
	v_bfe_u32 v31, v13, 20, 11
	v_mov_b32_e32 v20, v22
	v_mul_f16_e32 v16, v50, v3
	v_and_or_b32 v10, 0x1ff, v11, v10
	v_bfe_u32 v24, v6, 20, 11
	v_sub_nc_u32_e32 v51, 0x3f1, v31
	v_add_nc_u32_e32 v31, 0xfffffc10, v31
	v_lshlrev_b64_e32 v[19:20], 2, v[19:20]
	v_fmac_f16_e32 v16, v47, v0
	v_sub_nc_u32_e32 v27, 0x3f1, v24
	v_add_nc_u32_e32 v24, 0xfffffc10, v24
	v_and_or_b32 v12, 0x1ff, v13, v12
	v_and_or_b32 v14, 0x1ff, v15, v14
	v_add_co_u32 v19, vcc_lo, s2, v19
	s_wait_alu 0xfffd
	v_add_co_ci_u32_e32 v20, vcc_lo, s3, v20, vcc_lo
	v_cmp_ne_u32_e32 vcc_lo, 0, v5
	v_lshrrev_b32_e32 v28, 8, v11
	v_add_nc_u32_e32 v26, 0xfffffc10, v26
	v_lshrrev_b32_e32 v33, 8, v15
	v_cmp_gt_i32_e64 s3, 1, v31
	s_wait_alu 0xfffd
	v_cndmask_b32_e64 v5, 0, 1, vcc_lo
	v_cmp_ne_u32_e32 vcc_lo, 0, v8
	v_bfe_u32 v34, v15, 20, 11
	v_lshrrev_b32_e32 v11, 16, v11
	v_mul_f16_e32 v0, v50, v0
	s_wait_alu 0xfffd
	v_cndmask_b32_e64 v8, 0, 1, vcc_lo
	v_cmp_ne_u32_e32 vcc_lo, 0, v10
	s_delay_alu instid0(VALU_DEP_3) | instskip(NEXT) | instid1(VALU_DEP_3)
	v_fma_f16 v0, v47, v3, -v0
	v_and_or_b32 v8, 0xffe, v25, v8
	v_med3_i32 v25, v30, 0, 13
	v_mov_b32_e32 v22, v23
	v_cvt_f32_f16_e32 v23, v16
	v_mul_f64_e32 v[16:17], s[8:9], v[17:18]
	v_lshrrev_b32_e32 v18, 8, v6
	s_wait_alu 0xfffd
	v_cndmask_b32_e64 v10, 0, 1, vcc_lo
	v_or_b32_e32 v52, 0x1000, v8
	v_lshl_or_b32 v53, v26, 12, v8
	v_lshrrev_b32_e32 v6, 16, v6
	v_and_or_b32 v5, 0xffe, v18, v5
	v_med3_i32 v18, v27, 0, 13
	v_lshrrev_b32_e32 v27, 8, v13
	v_and_or_b32 v10, 0xffe, v28, v10
	v_med3_i32 v28, v32, 0, 13
	v_cmp_ne_u32_e32 vcc_lo, 0, v5
	v_or_b32_e32 v30, 0x1000, v5
	v_lshl_or_b32 v48, v24, 12, v5
	v_lshl_or_b32 v55, v29, 12, v10
	v_sub_nc_u32_e32 v32, 0x3f1, v34
	s_wait_alu 0xfffd
	v_cndmask_b32_e64 v5, 0, 1, vcc_lo
	v_cmp_ne_u32_e32 vcc_lo, 0, v12
	v_lshrrev_b32_e32 v54, v18, v30
	v_lshrrev_b32_e32 v13, 16, v13
	v_cvt_f32_f16_e32 v0, v0
	v_lshl_or_b32 v5, v5, 9, 0x7c00
	s_wait_alu 0xfffd
	v_cndmask_b32_e64 v12, 0, 1, vcc_lo
	v_cmp_ne_u32_e32 vcc_lo, 0, v14
	v_lshlrev_b32_e32 v18, v18, v54
	s_delay_alu instid0(VALU_DEP_3)
	v_and_or_b32 v12, 0xffe, v27, v12
	s_wait_alu 0xfffd
	v_cndmask_b32_e64 v14, 0, 1, vcc_lo
	v_cmp_ne_u32_e32 vcc_lo, 0, v8
	v_med3_i32 v27, v51, 0, 13
	v_or_b32_e32 v51, 0x1000, v10
	v_or_b32_e32 v56, 0x1000, v12
	v_and_or_b32 v14, 0xffe, v33, v14
	s_wait_alu 0xfffd
	v_cndmask_b32_e64 v8, 0, 1, vcc_lo
	v_lshrrev_b32_e32 v33, v25, v52
	v_cmp_ne_u32_e32 vcc_lo, 0, v12
	v_lshl_or_b32 v57, v31, 12, v12
	v_lshrrev_b32_e32 v58, v28, v51
	v_lshl_or_b32 v8, v8, 9, 0x7c00
	v_lshlrev_b32_e32 v25, v25, v33
	s_wait_alu 0xfffd
	v_cndmask_b32_e64 v12, 0, 1, vcc_lo
	v_cmp_ne_u32_e32 vcc_lo, v18, v30
	v_lshlrev_b32_e32 v28, v28, v58
	v_lshrrev_b32_e32 v30, v27, v56
	s_delay_alu instid0(VALU_DEP_4) | instskip(SKIP_4) | instid1(VALU_DEP_3)
	v_lshl_or_b32 v12, v12, 9, 0x7c00
	s_wait_alu 0xfffd
	v_cndmask_b32_e64 v18, 0, 1, vcc_lo
	v_cmp_ne_u32_e32 vcc_lo, v25, v52
	v_lshlrev_b32_e32 v27, v27, v30
	v_or_b32_e32 v18, v54, v18
	s_wait_alu 0xfffd
	v_cndmask_b32_e64 v25, 0, 1, vcc_lo
	v_cmp_ne_u32_e32 vcc_lo, v28, v51
	s_delay_alu instid0(VALU_DEP_2) | instskip(SKIP_3) | instid1(VALU_DEP_2)
	v_or_b32_e32 v25, v33, v25
	s_wait_alu 0xfffd
	v_cndmask_b32_e64 v28, 0, 1, vcc_lo
	v_cmp_gt_i32_e32 vcc_lo, 1, v24
	v_or_b32_e32 v28, v58, v28
	s_wait_alu 0xfffd
	v_cndmask_b32_e32 v18, v48, v18, vcc_lo
	v_cmp_ne_u32_e32 vcc_lo, v27, v56
	s_wait_alu 0xfffd
	v_cndmask_b32_e64 v27, 0, 1, vcc_lo
	v_cmp_gt_i32_e32 vcc_lo, 1, v26
	s_delay_alu instid0(VALU_DEP_2)
	v_or_b32_e32 v27, v30, v27
	s_wait_alu 0xfffd
	v_cndmask_b32_e32 v25, v53, v25, vcc_lo
	v_cmp_gt_i32_e32 vcc_lo, 1, v29
	v_and_b32_e32 v33, 7, v18
	s_wait_alu 0xf1ff
	v_cndmask_b32_e64 v27, v57, v27, s3
	v_and_b32_e32 v30, 7, v25
	s_wait_alu 0xfffd
	v_cndmask_b32_e32 v28, v55, v28, vcc_lo
	v_cmp_lt_i32_e32 vcc_lo, 5, v33
	v_cmp_eq_u32_e64 s0, 3, v33
	v_and_b32_e32 v33, 7, v27
	v_cmp_lt_i32_e64 s1, 5, v30
	v_cmp_eq_u32_e64 s2, 3, v30
	v_lshrrev_b32_e32 v18, 2, v18
	v_lshrrev_b32_e32 v25, 2, v25
	s_or_b32 vcc_lo, s0, vcc_lo
	v_cmp_eq_u32_e64 s0, 0x40f, v26
	s_or_b32 s1, s2, s1
	s_wait_alu 0xfffe
	v_add_co_ci_u32_e32 v18, vcc_lo, 0, v18, vcc_lo
	v_add_co_ci_u32_e64 v25, s1, 0, v25, s1
	v_cmp_gt_i32_e32 vcc_lo, 31, v26
	v_and_b32_e32 v30, 7, v28
	v_cmp_eq_u32_e64 s1, 0x40f, v24
	v_lshrrev_b32_e32 v28, 2, v28
	v_add_nc_u32_e32 v26, 0x1200, v44
	s_wait_alu 0xfffd
	v_cndmask_b32_e32 v25, 0x7c00, v25, vcc_lo
	v_cmp_gt_i32_e32 vcc_lo, 31, v24
	s_mul_u64 s[2:3], s[4:5], 0x4b0
	s_delay_alu instid0(VALU_DEP_2)
	v_cndmask_b32_e64 v8, v25, v8, s0
	s_wait_alu 0xfffd
	v_cndmask_b32_e32 v18, 0x7c00, v18, vcc_lo
	v_cmp_lt_i32_e32 vcc_lo, 5, v33
	v_cmp_eq_u32_e64 s0, 3, v33
	v_lshrrev_b32_e32 v25, 2, v27
	v_and_or_b32 v8, 0x8000, v9, v8
	v_cndmask_b32_e64 v5, v18, v5, s1
	v_cmp_gt_i32_e64 s1, 31, v31
	s_or_b32 vcc_lo, s0, vcc_lo
	v_cmp_eq_u32_e64 s0, 3, v30
	s_wait_alu 0xfffe
	v_add_co_ci_u32_e32 v9, vcc_lo, 0, v25, vcc_lo
	v_cmp_lt_i32_e32 vcc_lo, 5, v30
	v_and_or_b32 v5, 0x8000, v6, v5
	v_and_b32_e32 v6, 0xffff, v8
	s_delay_alu instid0(VALU_DEP_4)
	v_cndmask_b32_e64 v8, 0x7c00, v9, s1
	v_or_b32_e32 v18, 0x1000, v14
	s_or_b32 vcc_lo, s0, vcc_lo
	s_wait_alu 0xfffe
	v_add_co_ci_u32_e32 v9, vcc_lo, 0, v28, vcc_lo
	v_cmp_ne_u32_e32 vcc_lo, 0, v10
	v_lshl_or_b32 v24, v5, 16, v6
	v_cvt_f64_f32_e32 v[5:6], v23
	v_med3_i32 v23, v32, 0, 13
	s_wait_alu 0xfffd
	v_cndmask_b32_e64 v10, 0, 1, vcc_lo
	v_cmp_gt_i32_e32 vcc_lo, 31, v29
	s_delay_alu instid0(VALU_DEP_3) | instskip(NEXT) | instid1(VALU_DEP_3)
	v_lshrrev_b32_e32 v25, v23, v18
	v_lshl_or_b32 v10, v10, 9, 0x7c00
	s_wait_alu 0xfffd
	v_cndmask_b32_e32 v9, 0x7c00, v9, vcc_lo
	v_cmp_eq_u32_e32 vcc_lo, 0x40f, v31
	s_wait_alu 0xfffd
	v_dual_cndmask_b32 v12, v8, v12 :: v_dual_lshlrev_b32 v23, v23, v25
	v_cmp_eq_u32_e32 vcc_lo, 0x40f, v29
	s_delay_alu instid0(VALU_DEP_2)
	v_and_or_b32 v12, 0x8000, v13, v12
	s_wait_alu 0xfffd
	v_cndmask_b32_e32 v10, v9, v10, vcc_lo
	v_cmp_ne_u32_e32 vcc_lo, v23, v18
	v_bfe_u32 v23, v17, 20, 11
	v_lshlrev_b64_e32 v[8:9], 2, v[21:22]
	v_add_nc_u32_e32 v22, 0xfffffc10, v34
	s_wait_alu 0xfffd
	v_cndmask_b32_e64 v13, 0, 1, vcc_lo
	v_sub_nc_u32_e32 v27, 0x3f1, v23
	v_add_nc_u32_e32 v23, 0xfffffc10, v23
	v_and_or_b32 v18, 0x8000, v11, v10
	v_and_or_b32 v10, 0x1ff, v17, v16
	v_or_b32_e32 v21, v25, v13
	v_lshl_or_b32 v25, v22, 12, v14
	v_and_b32_e32 v16, 0xffff, v12
	v_cvt_f64_f32_e32 v[12:13], v0
	v_cmp_ne_u32_e32 vcc_lo, 0, v10
	v_lshrrev_b32_e32 v10, 8, v17
	s_wait_alu 0xfffd
	v_cndmask_b32_e64 v3, 0, 1, vcc_lo
	v_cmp_gt_i32_e32 vcc_lo, 1, v22
	s_delay_alu instid0(VALU_DEP_2)
	v_and_or_b32 v3, 0xffe, v10, v3
	s_wait_alu 0xfffd
	v_cndmask_b32_e32 v0, v25, v21, vcc_lo
	v_add_co_u32 v8, vcc_lo, v19, v8
	s_wait_alu 0xfffd
	v_add_co_ci_u32_e32 v9, vcc_lo, v20, v9, vcc_lo
	v_mul_f64_e32 v[10:11], s[8:9], v[5:6]
	ds_load_2addr_b32 v[5:6], v26 offset0:48 offset1:198
	v_lshl_or_b32 v26, v18, 16, v16
	v_and_b32_e32 v16, 7, v0
	v_add_co_u32 v18, vcc_lo, v8, s2
	s_wait_alu 0xfffd
	v_add_co_ci_u32_e32 v19, vcc_lo, s3, v9, vcc_lo
	s_delay_alu instid0(VALU_DEP_3)
	v_cmp_lt_i32_e32 vcc_lo, 5, v16
	v_cmp_eq_u32_e64 s0, 3, v16
	v_lshrrev_b32_e32 v0, 2, v0
	v_or_b32_e32 v21, 0x1000, v3
	v_med3_i32 v25, v27, 0, 13
	s_clause 0x1
	global_store_b32 v[8:9], v24, off
	global_store_b32 v[18:19], v26, off
	s_or_b32 vcc_lo, s0, vcc_lo
	s_wait_alu 0xfffe
	v_add_co_ci_u32_e32 v0, vcc_lo, 0, v0, vcc_lo
	v_cmp_ne_u32_e32 vcc_lo, 0, v14
	v_lshrrev_b32_e32 v20, v25, v21
	s_wait_dscnt 0x0
	v_lshrrev_b32_e32 v16, 16, v5
	v_mul_f64_e32 v[12:13], s[8:9], v[12:13]
	s_wait_alu 0xfffd
	v_cndmask_b32_e64 v14, 0, 1, vcc_lo
	v_cmp_gt_i32_e32 vcc_lo, 1, v23
	s_delay_alu instid0(VALU_DEP_2) | instskip(SKIP_1) | instid1(VALU_DEP_1)
	v_lshl_or_b32 v14, v14, 9, 0x7c00
	v_lshlrev_b32_e32 v25, v25, v20
	v_cmp_ne_u32_e64 s1, v25, v21
	v_mul_f16_e32 v25, v49, v16
	v_and_or_b32 v10, 0x1ff, v11, v10
	s_wait_alu 0xf1ff
	s_delay_alu instid0(VALU_DEP_3) | instskip(NEXT) | instid1(VALU_DEP_3)
	v_cndmask_b32_e64 v21, 0, 1, s1
	v_fmac_f16_e32 v25, v45, v5
	v_bfe_u32 v29, v11, 20, 11
	v_lshrrev_b32_e32 v28, 8, v11
	v_mul_f16_e32 v5, v49, v5
	v_or_b32_e32 v20, v20, v21
	v_lshl_or_b32 v21, v23, 12, v3
	s_delay_alu instid0(VALU_DEP_3) | instskip(SKIP_1) | instid1(VALU_DEP_2)
	v_fma_f16 v5, v45, v16, -v5
	s_wait_alu 0xfffd
	v_cndmask_b32_e32 v27, v21, v20, vcc_lo
	v_cmp_gt_i32_e32 vcc_lo, 31, v22
	v_cvt_f32_f16_e32 v20, v25
	v_cvt_f32_f16_e32 v5, v5
	s_wait_alu 0xfffd
	v_dual_cndmask_b32 v0, 0x7c00, v0 :: v_dual_and_b32 v25, 7, v27
	v_cmp_ne_u32_e32 vcc_lo, 0, v10
	v_cvt_f64_f32_e32 v[20:21], v20
	s_delay_alu instid0(VALU_DEP_3)
	v_cmp_eq_u32_e64 s0, 3, v25
	v_and_or_b32 v12, 0x1ff, v13, v12
	s_wait_alu 0xfffd
	v_cndmask_b32_e64 v10, 0, 1, vcc_lo
	v_cmp_eq_u32_e32 vcc_lo, 0x40f, v22
	v_lshrrev_b32_e32 v22, 2, v27
	s_delay_alu instid0(VALU_DEP_3)
	v_and_or_b32 v10, 0xffe, v28, v10
	s_wait_alu 0xfffd
	v_cndmask_b32_e32 v0, v0, v14, vcc_lo
	v_cmp_lt_i32_e32 vcc_lo, 5, v25
	v_lshrrev_b32_e32 v14, 16, v15
	v_sub_nc_u32_e32 v15, 0x3f1, v29
	v_or_b32_e32 v25, 0x1000, v10
	s_or_b32 vcc_lo, s0, vcc_lo
	s_delay_alu instid0(VALU_DEP_3) | instskip(NEXT) | instid1(VALU_DEP_3)
	v_and_or_b32 v0, 0x8000, v14, v0
	v_med3_i32 v27, v15, 0, 13
	s_wait_alu 0xfffe
	v_add_co_ci_u32_e32 v15, vcc_lo, 0, v22, vcc_lo
	v_cmp_ne_u32_e32 vcc_lo, 0, v3
	v_and_b32_e32 v0, 0xffff, v0
	v_lshrrev_b32_e32 v22, v27, v25
	s_wait_alu 0xfffd
	v_cndmask_b32_e64 v3, 0, 1, vcc_lo
	v_cmp_gt_i32_e32 vcc_lo, 31, v23
	s_delay_alu instid0(VALU_DEP_2)
	v_lshl_or_b32 v3, v3, 9, 0x7c00
	s_wait_alu 0xfffd
	v_cndmask_b32_e32 v16, 0x7c00, v15, vcc_lo
	v_cvt_f64_f32_e32 v[14:15], v5
	v_lshlrev_b32_e32 v5, v27, v22
	v_cmp_eq_u32_e32 vcc_lo, 0x40f, v23
	v_lshrrev_b32_e32 v23, 16, v17
	s_wait_alu 0xfffd
	v_cndmask_b32_e32 v3, v16, v3, vcc_lo
	v_cmp_ne_u32_e32 vcc_lo, v5, v25
	v_mul_f64_e32 v[16:17], s[8:9], v[20:21]
	v_add_nc_u32_e32 v25, 0xfffffc10, v29
	v_lshrrev_b32_e32 v20, 8, v13
	v_bfe_u32 v21, v13, 20, 11
	s_wait_alu 0xfffd
	v_cndmask_b32_e64 v5, 0, 1, vcc_lo
	v_cmp_ne_u32_e32 vcc_lo, 0, v12
	v_and_or_b32 v3, 0x8000, v23, v3
	v_lshrrev_b32_e32 v13, 16, v13
	s_delay_alu instid0(VALU_DEP_4)
	v_or_b32_e32 v5, v22, v5
	s_wait_alu 0xfffd
	v_cndmask_b32_e64 v12, 0, 1, vcc_lo
	v_lshl_or_b32 v22, v25, 12, v10
	v_cmp_gt_i32_e32 vcc_lo, 1, v25
	v_lshl_or_b32 v0, v3, 16, v0
	s_delay_alu instid0(VALU_DEP_4)
	v_and_or_b32 v12, 0xffe, v20, v12
	v_sub_nc_u32_e32 v20, 0x3f1, v21
	s_wait_alu 0xfffd
	v_cndmask_b32_e32 v5, v22, v5, vcc_lo
	v_add_co_u32 v8, vcc_lo, v18, s2
	v_or_b32_e32 v22, 0x1000, v12
	v_med3_i32 v20, v20, 0, 13
	s_delay_alu instid0(VALU_DEP_4) | instskip(SKIP_2) | instid1(VALU_DEP_3)
	v_and_b32_e32 v3, 7, v5
	s_wait_alu 0xfffd
	v_add_co_ci_u32_e32 v9, vcc_lo, s3, v19, vcc_lo
	v_lshrrev_b32_e32 v23, v20, v22
	s_delay_alu instid0(VALU_DEP_3)
	v_cmp_lt_i32_e32 vcc_lo, 5, v3
	v_cmp_eq_u32_e64 s0, 3, v3
	v_mul_f64_e32 v[14:15], s[8:9], v[14:15]
	v_lshrrev_b32_e32 v3, 2, v5
	v_lshlrev_b32_e32 v18, v20, v23
	v_add_nc_u32_e32 v20, 0xfffffc10, v21
	s_or_b32 vcc_lo, s0, vcc_lo
	v_lshrrev_b32_e32 v5, 16, v7
	s_wait_alu 0xfffe
	v_add_co_ci_u32_e32 v3, vcc_lo, 0, v3, vcc_lo
	v_cmp_ne_u32_e64 s1, v18, v22
	v_cmp_ne_u32_e32 vcc_lo, 0, v10
	v_lshl_or_b32 v21, v20, 12, v12
	v_and_or_b32 v16, 0x1ff, v17, v16
	v_mul_f16_e32 v19, v46, v5
	s_wait_alu 0xf1ff
	v_cndmask_b32_e64 v18, 0, 1, s1
	s_wait_alu 0xfffd
	v_cndmask_b32_e64 v10, 0, 1, vcc_lo
	v_cmp_gt_i32_e32 vcc_lo, 1, v20
	v_lshrrev_b32_e32 v22, 8, v17
	v_fmac_f16_e32 v19, v42, v7
	v_or_b32_e32 v18, v23, v18
	v_bfe_u32 v23, v17, 20, 11
	v_lshl_or_b32 v10, v10, 9, 0x7c00
	v_mul_f16_e32 v7, v46, v7
	global_store_b32 v[8:9], v0, off
	s_wait_alu 0xfffd
	v_cndmask_b32_e32 v21, v21, v18, vcc_lo
	v_cmp_ne_u32_e32 vcc_lo, 0, v16
	v_cvt_f32_f16_e32 v18, v19
	v_fma_f16 v5, v42, v5, -v7
	v_lshrrev_b32_e32 v17, 16, v17
	v_and_b32_e32 v24, 7, v21
	s_wait_alu 0xfffd
	v_cndmask_b32_e64 v16, 0, 1, vcc_lo
	v_cmp_gt_i32_e32 vcc_lo, 31, v25
	v_cvt_f64_f32_e32 v[18:19], v18
	v_cvt_f32_f16_e32 v5, v5
	v_cmp_eq_u32_e64 s0, 3, v24
	v_and_or_b32 v16, 0xffe, v22, v16
	s_wait_alu 0xfffd
	v_cndmask_b32_e32 v3, 0x7c00, v3, vcc_lo
	v_sub_nc_u32_e32 v22, 0x3f1, v23
	v_cmp_eq_u32_e32 vcc_lo, 0x40f, v25
	v_lshrrev_b32_e32 v25, 16, v11
	v_lshrrev_b32_e32 v11, 2, v21
	v_and_or_b32 v14, 0x1ff, v15, v14
	v_med3_i32 v22, v22, 0, 13
	s_wait_alu 0xfffd
	v_cndmask_b32_e32 v3, v3, v10, vcc_lo
	v_or_b32_e32 v10, 0x1000, v16
	v_cmp_lt_i32_e32 vcc_lo, 5, v24
	s_delay_alu instid0(VALU_DEP_3) | instskip(NEXT) | instid1(VALU_DEP_3)
	v_and_or_b32 v0, 0x8000, v25, v3
	v_lshrrev_b32_e32 v21, v22, v10
	s_or_b32 vcc_lo, s0, vcc_lo
	s_wait_alu 0xfffe
	v_add_co_ci_u32_e32 v24, vcc_lo, 0, v11, vcc_lo
	s_delay_alu instid0(VALU_DEP_2)
	v_lshlrev_b32_e32 v7, v22, v21
	v_cmp_ne_u32_e32 vcc_lo, 0, v14
	v_lshrrev_b32_e32 v14, 8, v15
	v_add_nc_u32_e32 v22, 0xfffffc10, v23
	v_bfe_u32 v23, v15, 20, 11
	v_and_b32_e32 v0, 0xffff, v0
	s_wait_alu 0xfffd
	v_cndmask_b32_e64 v11, 0, 1, vcc_lo
	v_cmp_ne_u32_e32 vcc_lo, v7, v10
	v_lshrrev_b32_e32 v15, 16, v15
	s_delay_alu instid0(VALU_DEP_3)
	v_and_or_b32 v14, 0xffe, v14, v11
	s_wait_alu 0xfffd
	v_cndmask_b32_e64 v7, 0, 1, vcc_lo
	v_cmp_ne_u32_e32 vcc_lo, 0, v12
	v_cvt_f64_f32_e32 v[10:11], v5
	v_sub_nc_u32_e32 v12, 0x3f1, v23
	v_or_b32_e32 v26, 0x1000, v14
	v_or_b32_e32 v7, v21, v7
	s_wait_alu 0xfffd
	v_cndmask_b32_e64 v5, 0, 1, vcc_lo
	v_cmp_gt_i32_e32 vcc_lo, 31, v20
	v_lshl_or_b32 v21, v22, 12, v16
	v_med3_i32 v12, v12, 0, 13
	v_mul_f64_e32 v[18:19], s[8:9], v[18:19]
	v_lshl_or_b32 v5, v5, 9, 0x7c00
	s_wait_alu 0xfffd
	v_cndmask_b32_e32 v24, 0x7c00, v24, vcc_lo
	v_cmp_gt_i32_e32 vcc_lo, 1, v22
	v_add_nc_u32_e32 v23, 0xfffffc10, v23
	s_wait_alu 0xfffd
	v_cndmask_b32_e32 v7, v21, v7, vcc_lo
	v_lshrrev_b32_e32 v21, v12, v26
	v_cmp_eq_u32_e32 vcc_lo, 0x40f, v20
	s_delay_alu instid0(VALU_DEP_3) | instskip(NEXT) | instid1(VALU_DEP_3)
	v_and_b32_e32 v20, 7, v7
	v_lshlrev_b32_e32 v12, v12, v21
	s_wait_alu 0xfffd
	v_cndmask_b32_e32 v5, v24, v5, vcc_lo
	v_lshrrev_b32_e32 v7, 2, v7
	v_cmp_lt_i32_e32 vcc_lo, 5, v20
	v_cmp_ne_u32_e64 s0, v12, v26
	s_delay_alu instid0(VALU_DEP_4) | instskip(SKIP_2) | instid1(VALU_DEP_3)
	v_and_or_b32 v3, 0x8000, v13, v5
	v_lshl_or_b32 v12, v23, 12, v14
	s_wait_alu 0xf1ff
	v_cndmask_b32_e64 v5, 0, 1, s0
	v_cmp_eq_u32_e64 s0, 3, v20
	v_lshl_or_b32 v0, v3, 16, v0
	s_delay_alu instid0(VALU_DEP_3) | instskip(NEXT) | instid1(VALU_DEP_3)
	v_or_b32_e32 v5, v21, v5
	s_or_b32 vcc_lo, s0, vcc_lo
	v_mul_f64_e32 v[10:11], s[8:9], v[10:11]
	s_wait_alu 0xfffe
	v_add_co_ci_u32_e32 v7, vcc_lo, 0, v7, vcc_lo
	v_cmp_ne_u32_e32 vcc_lo, 0, v16
	v_lshrrev_b32_e32 v16, 16, v4
	v_bfe_u32 v20, v19, 20, 11
	s_wait_alu 0xfffd
	v_cndmask_b32_e64 v13, 0, 1, vcc_lo
	v_cmp_gt_i32_e32 vcc_lo, 1, v23
	s_delay_alu instid0(VALU_DEP_3) | instskip(SKIP_3) | instid1(VALU_DEP_3)
	v_sub_nc_u32_e32 v21, 0x3f1, v20
	s_wait_alu 0xfffd
	v_dual_cndmask_b32 v5, v12, v5 :: v_dual_add_nc_u32 v20, 0xfffffc10, v20
	v_cmp_gt_i32_e32 vcc_lo, 31, v22
	v_med3_i32 v21, v21, 0, 13
	s_wait_alu 0xfffd
	s_delay_alu instid0(VALU_DEP_3)
	v_dual_cndmask_b32 v3, 0x7c00, v7 :: v_dual_and_b32 v12, 7, v5
	v_lshl_or_b32 v7, v13, 9, 0x7c00
	v_cmp_eq_u32_e32 vcc_lo, 0x40f, v22
	v_and_or_b32 v13, 0x1ff, v19, v18
	v_lshrrev_b32_e32 v5, 2, v5
	v_lshrrev_b32_e32 v18, 8, v19
	s_wait_alu 0xfffd
	v_cndmask_b32_e32 v3, v3, v7, vcc_lo
	v_mul_f16_e32 v7, v43, v16
	v_cmp_ne_u32_e64 s0, 0, v13
	v_cmp_lt_i32_e32 vcc_lo, 5, v12
	s_delay_alu instid0(VALU_DEP_4) | instskip(NEXT) | instid1(VALU_DEP_4)
	v_and_or_b32 v17, 0x8000, v17, v3
	v_fmac_f16_e32 v7, v40, v4
	s_wait_alu 0xf1ff
	v_cndmask_b32_e64 v13, 0, 1, s0
	v_cmp_eq_u32_e64 s0, 3, v12
	v_mul_f16_e32 v3, v43, v4
	v_cvt_f32_f16_e32 v7, v7
	s_delay_alu instid0(VALU_DEP_4) | instskip(NEXT) | instid1(VALU_DEP_4)
	v_and_or_b32 v18, 0xffe, v18, v13
	s_or_b32 vcc_lo, s0, vcc_lo
	v_and_or_b32 v4, 0x1ff, v11, v10
	s_wait_alu 0xfffe
	v_add_co_ci_u32_e32 v5, vcc_lo, 0, v5, vcc_lo
	v_cvt_f64_f32_e32 v[12:13], v7
	v_add_co_u32 v7, vcc_lo, v8, s2
	s_wait_alu 0xfffd
	v_add_co_ci_u32_e32 v8, vcc_lo, s3, v9, vcc_lo
	v_cmp_gt_i32_e32 vcc_lo, 31, v23
	v_or_b32_e32 v22, 0x1000, v18
	v_fma_f16 v3, v40, v16, -v3
	v_lshrrev_b32_e32 v16, 8, v11
	global_store_b32 v[7:8], v0, off
	s_wait_alu 0xfffd
	v_cndmask_b32_e32 v5, 0x7c00, v5, vcc_lo
	v_cmp_ne_u32_e32 vcc_lo, 0, v14
	v_lshrrev_b32_e32 v9, v21, v22
	v_cvt_f32_f16_e32 v3, v3
	s_wait_alu 0xfffd
	v_cndmask_b32_e64 v10, 0, 1, vcc_lo
	v_cmp_ne_u32_e32 vcc_lo, 0, v4
	v_lshlrev_b32_e32 v14, v21, v9
	v_bfe_u32 v21, v11, 20, 11
	v_lshrrev_b32_e32 v11, 16, v11
	v_lshl_or_b32 v10, v10, 9, 0x7c00
	s_wait_alu 0xfffd
	v_cndmask_b32_e64 v4, 0, 1, vcc_lo
	v_cmp_ne_u32_e32 vcc_lo, v14, v22
	v_sub_nc_u32_e32 v22, 0x3f1, v21
	s_delay_alu instid0(VALU_DEP_3)
	v_and_or_b32 v16, 0xffe, v16, v4
	v_cvt_f64_f32_e32 v[3:4], v3
	s_wait_alu 0xfffd
	v_cndmask_b32_e64 v14, 0, 1, vcc_lo
	v_med3_i32 v22, v22, 0, 13
	v_cmp_eq_u32_e32 vcc_lo, 0x40f, v23
	v_or_b32_e32 v24, 0x1000, v16
	s_delay_alu instid0(VALU_DEP_4)
	v_or_b32_e32 v9, v9, v14
	v_lshl_or_b32 v14, v20, 12, v18
	s_wait_alu 0xfffd
	v_cndmask_b32_e32 v5, v5, v10, vcc_lo
	v_lshrrev_b32_e32 v23, v22, v24
	v_cmp_gt_i32_e32 vcc_lo, 1, v20
	s_delay_alu instid0(VALU_DEP_3)
	v_and_or_b32 v0, 0x8000, v15, v5
	v_add_nc_u32_e32 v15, 0xfffffc10, v21
	s_wait_alu 0xfffd
	v_cndmask_b32_e32 v14, v14, v9, vcc_lo
	v_mul_f64_e32 v[9:10], s[8:9], v[12:13]
	v_lshlrev_b32_e32 v12, v22, v23
	v_and_b32_e32 v5, 0xffff, v17
	v_lshl_or_b32 v17, v15, 12, v16
	v_and_b32_e32 v13, 7, v14
	v_cmp_gt_i32_e64 s1, 1, v15
	v_cmp_ne_u32_e32 vcc_lo, v12, v24
	v_lshl_or_b32 v0, v0, 16, v5
	v_lshrrev_b32_e32 v5, 16, v2
	v_cmp_eq_u32_e64 s0, 3, v13
	s_wait_alu 0xfffd
	v_cndmask_b32_e64 v12, 0, 1, vcc_lo
	v_cmp_lt_i32_e32 vcc_lo, 5, v13
	v_lshrrev_b32_e32 v13, 2, v14
	v_mul_f16_e32 v14, v41, v5
	s_delay_alu instid0(VALU_DEP_4) | instskip(SKIP_1) | instid1(VALU_DEP_2)
	v_or_b32_e32 v12, v23, v12
	s_or_b32 vcc_lo, s0, vcc_lo
	v_fmac_f16_e32 v14, v38, v2
	s_delay_alu instid0(VALU_DEP_2)
	v_cndmask_b32_e64 v17, v17, v12, s1
	s_wait_alu 0xfffe
	v_add_co_ci_u32_e32 v12, vcc_lo, 0, v13, vcc_lo
	v_cmp_ne_u32_e32 vcc_lo, 0, v18
	v_mul_f64_e32 v[3:4], s[8:9], v[3:4]
	v_and_b32_e32 v18, 7, v17
	v_cvt_f32_f16_e32 v14, v14
	v_lshrrev_b32_e32 v17, 2, v17
	s_wait_alu 0xfffd
	v_cndmask_b32_e64 v13, 0, 1, vcc_lo
	v_cmp_gt_i32_e32 vcc_lo, 31, v20
	v_cmp_eq_u32_e64 s0, 3, v18
	v_cmp_eq_u32_e64 s1, 0x40f, v20
	s_delay_alu instid0(VALU_DEP_4)
	v_lshl_or_b32 v22, v13, 9, 0x7c00
	s_wait_alu 0xfffd
	v_cndmask_b32_e32 v21, 0x7c00, v12, vcc_lo
	v_cmp_lt_i32_e32 vcc_lo, 5, v18
	v_cvt_f64_f32_e32 v[12:13], v14
	v_and_or_b32 v9, 0x1ff, v10, v9
	v_lshrrev_b32_e32 v18, 16, v19
	s_wait_alu 0xf1ff
	v_cndmask_b32_e64 v14, v21, v22, s1
	s_or_b32 vcc_lo, s0, vcc_lo
	v_lshrrev_b32_e32 v19, 8, v10
	s_wait_alu 0xfffe
	v_add_co_ci_u32_e32 v17, vcc_lo, 0, v17, vcc_lo
	v_cmp_ne_u32_e32 vcc_lo, 0, v16
	v_bfe_u32 v20, v10, 20, 11
	v_and_or_b32 v14, 0x8000, v18, v14
	s_mul_i32 s0, s5, 0xffffef98
	v_lshrrev_b32_e32 v10, 16, v10
	s_wait_alu 0xfffd
	v_cndmask_b32_e64 v16, 0, 1, vcc_lo
	v_cmp_ne_u32_e32 vcc_lo, 0, v9
	v_sub_nc_u32_e32 v18, 0x3f1, v20
	s_wait_alu 0xfffe
	s_sub_co_i32 s0, s0, s4
	v_lshl_or_b32 v16, v16, 9, 0x7c00
	s_wait_alu 0xfffd
	v_cndmask_b32_e64 v9, 0, 1, vcc_lo
	v_cmp_gt_i32_e32 vcc_lo, 31, v15
	s_delay_alu instid0(VALU_DEP_2)
	v_and_or_b32 v9, 0xffe, v19, v9
	s_wait_alu 0xfffd
	v_cndmask_b32_e32 v17, 0x7c00, v17, vcc_lo
	v_cmp_eq_u32_e32 vcc_lo, 0x40f, v15
	v_and_or_b32 v3, 0x1ff, v4, v3
	v_and_b32_e32 v19, 0xffff, v14
	v_bfe_u32 v21, v4, 20, 11
	s_wait_alu 0xfffd
	v_cndmask_b32_e32 v15, v17, v16, vcc_lo
	v_or_b32_e32 v16, 0x1000, v9
	v_med3_i32 v17, v18, 0, 13
	v_add_co_u32 v7, vcc_lo, v7, s2
	s_wait_alu 0xfffd
	v_add_co_ci_u32_e32 v8, vcc_lo, s3, v8, vcc_lo
	s_delay_alu instid0(VALU_DEP_3)
	v_lshrrev_b32_e32 v18, v17, v16
	v_and_or_b32 v15, 0x8000, v11, v15
	v_mul_f16_e32 v11, v41, v2
	v_cmp_ne_u32_e32 vcc_lo, 0, v3
	v_mul_f64_e32 v[2:3], s[8:9], v[12:13]
	v_lshlrev_b32_e32 v14, v17, v18
	v_sub_nc_u32_e32 v13, 0x3f1, v21
	v_fma_f16 v5, v38, v5, -v11
	s_wait_alu 0xfffd
	v_cndmask_b32_e64 v17, 0, 1, vcc_lo
	v_lshrrev_b32_e32 v11, 8, v4
	v_cmp_ne_u32_e32 vcc_lo, v14, v16
	v_add_nc_u32_e32 v16, 0xfffffc10, v20
	v_cvt_f32_f16_e32 v5, v5
	v_med3_i32 v22, v13, 0, 13
	v_and_or_b32 v17, 0xffe, v11, v17
	s_wait_alu 0xfffd
	v_cndmask_b32_e64 v12, 0, 1, vcc_lo
	v_cmp_gt_i32_e32 vcc_lo, 1, v16
	v_mad_co_u64_u32 v[13:14], null, 0xffffef98, s4, v[7:8]
	v_or_b32_e32 v20, 0x1000, v17
	s_delay_alu instid0(VALU_DEP_4)
	v_or_b32_e32 v18, v18, v12
	v_cvt_f64_f32_e32 v[11:12], v5
	v_lshl_or_b32 v5, v16, 12, v9
	global_store_b32 v[7:8], v0, off
	v_lshl_or_b32 v15, v15, 16, v19
	s_wait_alu 0xfffe
	v_add_nc_u32_e32 v14, s0, v14
	v_lshrrev_b32_e32 v19, 16, v1
	s_wait_alu 0xfffd
	v_cndmask_b32_e32 v5, v5, v18, vcc_lo
	v_lshrrev_b32_e32 v18, v22, v20
	v_cmp_eq_u32_e64 s1, 0x40f, v16
	v_lshrrev_b32_e32 v4, 16, v4
	v_mul_f16_e32 v8, v39, v19
	v_and_b32_e32 v0, 7, v5
	v_lshlrev_b32_e32 v7, v22, v18
	s_delay_alu instid0(VALU_DEP_3) | instskip(NEXT) | instid1(VALU_DEP_3)
	v_fmac_f16_e32 v8, v36, v1
	v_cmp_lt_i32_e32 vcc_lo, 5, v0
	s_delay_alu instid0(VALU_DEP_3) | instskip(SKIP_1) | instid1(VALU_DEP_4)
	v_cmp_ne_u32_e64 s0, v7, v20
	v_add_nc_u32_e32 v20, 0xfffffc10, v21
	v_cvt_f32_f16_e32 v8, v8
	v_and_or_b32 v2, 0x1ff, v3, v2
	s_wait_alu 0xf1ff
	v_cndmask_b32_e64 v7, 0, 1, s0
	v_cmp_eq_u32_e64 s0, 3, v0
	v_lshrrev_b32_e32 v0, 2, v5
	v_bfe_u32 v21, v3, 20, 11
	s_delay_alu instid0(VALU_DEP_4) | instskip(NEXT) | instid1(VALU_DEP_4)
	v_or_b32_e32 v5, v18, v7
	s_or_b32 vcc_lo, s0, vcc_lo
	v_lshl_or_b32 v7, v20, 12, v17
	s_wait_alu 0xfffe
	v_add_co_ci_u32_e32 v0, vcc_lo, 0, v0, vcc_lo
	v_cmp_gt_i32_e32 vcc_lo, 1, v20
	v_lshrrev_b32_e32 v18, 8, v3
	s_wait_alu 0xfffd
	v_cndmask_b32_e32 v5, v7, v5, vcc_lo
	v_cmp_ne_u32_e32 vcc_lo, 0, v2
	v_cvt_f64_f32_e32 v[7:8], v8
	v_mul_f64_e32 v[11:12], s[8:9], v[11:12]
	s_delay_alu instid0(VALU_DEP_4)
	v_and_b32_e32 v22, 7, v5
	s_wait_alu 0xfffd
	v_cndmask_b32_e64 v2, 0, 1, vcc_lo
	v_cmp_ne_u32_e32 vcc_lo, 0, v9
	v_lshrrev_b32_e32 v5, 2, v5
	v_cmp_eq_u32_e64 s0, 3, v22
	s_delay_alu instid0(VALU_DEP_4)
	v_and_or_b32 v2, 0xffe, v18, v2
	s_wait_alu 0xfffd
	v_cndmask_b32_e64 v9, 0, 1, vcc_lo
	v_cmp_gt_i32_e32 vcc_lo, 31, v16
	v_sub_nc_u32_e32 v18, 0x3f1, v21
	v_or_b32_e32 v23, 0x1000, v2
	s_delay_alu instid0(VALU_DEP_4) | instskip(SKIP_4) | instid1(VALU_DEP_3)
	v_lshl_or_b32 v9, v9, 9, 0x7c00
	s_wait_alu 0xfffd
	v_cndmask_b32_e32 v0, 0x7c00, v0, vcc_lo
	v_cmp_lt_i32_e32 vcc_lo, 5, v22
	v_med3_i32 v18, v18, 0, 13
	v_cndmask_b32_e64 v0, v0, v9, s1
	s_or_b32 vcc_lo, s0, vcc_lo
	s_delay_alu instid0(VALU_DEP_2)
	v_lshrrev_b32_e32 v9, v18, v23
	s_wait_alu 0xfffe
	v_add_co_ci_u32_e32 v5, vcc_lo, 0, v5, vcc_lo
	v_cmp_ne_u32_e32 vcc_lo, 0, v17
	v_and_or_b32 v10, 0x8000, v10, v0
	v_lshlrev_b32_e32 v17, v18, v9
	v_add_nc_u32_e32 v18, 0xfffffc10, v21
	s_wait_alu 0xfffd
	v_cndmask_b32_e64 v16, 0, 1, vcc_lo
	v_cmp_gt_i32_e32 vcc_lo, 31, v20
	v_and_b32_e32 v10, 0xffff, v10
	s_delay_alu instid0(VALU_DEP_3)
	v_lshl_or_b32 v16, v16, 9, 0x7c00
	s_wait_alu 0xfffd
	v_cndmask_b32_e32 v5, 0x7c00, v5, vcc_lo
	v_cmp_ne_u32_e32 vcc_lo, v17, v23
	s_wait_alu 0xfffd
	v_cndmask_b32_e64 v17, 0, 1, vcc_lo
	v_cmp_eq_u32_e32 vcc_lo, 0x40f, v20
	s_delay_alu instid0(VALU_DEP_2)
	v_or_b32_e32 v9, v9, v17
	s_wait_alu 0xfffd
	v_cndmask_b32_e32 v5, v5, v16, vcc_lo
	v_mul_f16_e32 v16, v39, v1
	v_mul_f64_e32 v[0:1], s[8:9], v[7:8]
	v_lshl_or_b32 v7, v18, 12, v2
	v_and_or_b32 v8, 0x1ff, v12, v11
	v_cmp_gt_i32_e32 vcc_lo, 1, v18
	v_fma_f16 v11, v36, v19, -v16
	v_bfe_u32 v16, v12, 20, 11
	v_and_or_b32 v17, 0x8000, v4, v5
	s_wait_alu 0xfffd
	v_cndmask_b32_e32 v7, v7, v9, vcc_lo
	v_cmp_ne_u32_e32 vcc_lo, 0, v8
	v_cvt_f32_f16_e32 v9, v11
	v_lshrrev_b32_e32 v11, 8, v12
	v_lshl_or_b32 v17, v17, 16, v10
	v_and_b32_e32 v19, 7, v7
	s_wait_alu 0xfffd
	v_cndmask_b32_e64 v8, 0, 1, vcc_lo
	v_cvt_f64_f32_e32 v[4:5], v9
	v_lshrrev_b32_e32 v9, 16, v6
	v_lshrrev_b32_e32 v7, 2, v7
	v_cmp_lt_i32_e32 vcc_lo, 5, v19
	v_and_or_b32 v11, 0xffe, v11, v8
	v_sub_nc_u32_e32 v8, 0x3f1, v16
	v_cmp_eq_u32_e64 s0, 3, v19
	v_mul_f16_e32 v21, v37, v9
	v_add_nc_u32_e32 v16, 0xfffffc10, v16
	v_or_b32_e32 v20, 0x1000, v11
	v_med3_i32 v8, v8, 0, 13
	s_or_b32 vcc_lo, s0, vcc_lo
	v_fmac_f16_e32 v21, v35, v6
	s_wait_alu 0xfffe
	v_add_co_ci_u32_e32 v7, vcc_lo, 0, v7, vcc_lo
	v_lshrrev_b32_e32 v10, v8, v20
	v_cmp_ne_u32_e32 vcc_lo, 0, v2
	v_mul_f16_e32 v6, v37, v6
	v_lshrrev_b32_e32 v12, 16, v12
	s_delay_alu instid0(VALU_DEP_4)
	v_lshlrev_b32_e32 v19, v8, v10
	s_wait_alu 0xfffd
	v_cndmask_b32_e64 v2, 0, 1, vcc_lo
	v_cvt_f32_f16_e32 v8, v21
	v_cmp_gt_i32_e32 vcc_lo, 31, v18
	v_and_or_b32 v0, 0x1ff, v1, v0
	v_fma_f16 v6, v35, v9, -v6
	v_lshl_or_b32 v9, v16, 12, v11
	v_lshl_or_b32 v2, v2, 9, 0x7c00
	s_wait_alu 0xfffd
	v_cndmask_b32_e32 v21, 0x7c00, v7, vcc_lo
	v_cvt_f64_f32_e32 v[7:8], v8
	v_cmp_ne_u32_e32 vcc_lo, v19, v20
	v_lshrrev_b32_e32 v20, 8, v1
	v_cvt_f32_f16_e32 v6, v6
	s_wait_alu 0xfffd
	v_cndmask_b32_e64 v19, 0, 1, vcc_lo
	v_cmp_ne_u32_e32 vcc_lo, 0, v0
	v_mul_f64_e32 v[4:5], s[8:9], v[4:5]
	s_delay_alu instid0(VALU_DEP_3)
	v_or_b32_e32 v10, v10, v19
	s_wait_alu 0xfffd
	v_cndmask_b32_e64 v0, 0, 1, vcc_lo
	v_bfe_u32 v19, v1, 20, 11
	v_cmp_gt_i32_e32 vcc_lo, 1, v16
	v_lshrrev_b32_e32 v1, 16, v1
	s_delay_alu instid0(VALU_DEP_4) | instskip(NEXT) | instid1(VALU_DEP_4)
	v_and_or_b32 v0, 0xffe, v20, v0
	v_sub_nc_u32_e32 v20, 0x3f1, v19
	s_wait_alu 0xfffd
	v_cndmask_b32_e32 v22, v9, v10, vcc_lo
	v_cmp_eq_u32_e32 vcc_lo, 0x40f, v18
	v_cvt_f64_f32_e32 v[9:10], v6
	v_or_b32_e32 v23, 0x1000, v0
	v_med3_i32 v20, v20, 0, 13
	v_lshrrev_b32_e32 v18, 16, v3
	s_wait_alu 0xfffd
	v_cndmask_b32_e32 v6, v21, v2, vcc_lo
	v_and_b32_e32 v21, 7, v22
	v_add_co_u32 v2, vcc_lo, v13, s2
	v_lshrrev_b32_e32 v24, v20, v23
	s_wait_alu 0xfffd
	v_add_co_ci_u32_e32 v3, vcc_lo, s3, v14, vcc_lo
	v_cmp_lt_i32_e32 vcc_lo, 5, v21
	v_cmp_eq_u32_e64 s0, 3, v21
	v_lshrrev_b32_e32 v21, 2, v22
	v_lshlrev_b32_e32 v20, v20, v24
	v_and_or_b32 v18, 0x8000, v18, v6
	v_add_nc_u32_e32 v19, 0xfffffc10, v19
	s_or_b32 vcc_lo, s0, vcc_lo
	v_mul_f64_e32 v[6:7], s[8:9], v[7:8]
	s_wait_alu 0xfffe
	v_add_co_ci_u32_e32 v8, vcc_lo, 0, v21, vcc_lo
	v_cmp_ne_u32_e64 s1, v20, v23
	v_cmp_ne_u32_e32 vcc_lo, 0, v11
	v_lshl_or_b32 v21, v19, 12, v0
	s_wait_alu 0xf1ff
	s_delay_alu instid0(VALU_DEP_3)
	v_cndmask_b32_e64 v20, 0, 1, s1
	s_wait_alu 0xfffd
	v_cndmask_b32_e64 v11, 0, 1, vcc_lo
	v_cmp_gt_i32_e32 vcc_lo, 31, v16
	v_and_or_b32 v4, 0x1ff, v5, v4
	v_or_b32_e32 v20, v24, v20
	s_delay_alu instid0(VALU_DEP_4)
	v_lshl_or_b32 v11, v11, 9, 0x7c00
	s_wait_alu 0xfffd
	v_cndmask_b32_e32 v8, 0x7c00, v8, vcc_lo
	v_cmp_gt_i32_e32 vcc_lo, 1, v19
	s_wait_alu 0xfffd
	v_cndmask_b32_e32 v20, v21, v20, vcc_lo
	v_cmp_eq_u32_e32 vcc_lo, 0x40f, v16
	v_lshrrev_b32_e32 v21, 8, v5
	s_wait_alu 0xfffd
	s_delay_alu instid0(VALU_DEP_3) | instskip(SKIP_3) | instid1(VALU_DEP_4)
	v_dual_cndmask_b32 v11, v8, v11 :: v_dual_and_b32 v16, 7, v20
	v_cmp_ne_u32_e32 vcc_lo, 0, v4
	v_mul_f64_e32 v[8:9], s[8:9], v[9:10]
	v_bfe_u32 v10, v5, 20, 11
	v_cmp_eq_u32_e64 s0, 3, v16
	v_and_or_b32 v11, 0x8000, v12, v11
	v_and_b32_e32 v12, 0xffff, v18
	s_wait_alu 0xfffd
	v_cndmask_b32_e64 v4, 0, 1, vcc_lo
	v_cmp_lt_i32_e32 vcc_lo, 5, v16
	v_sub_nc_u32_e32 v18, 0x3f1, v10
	v_add_nc_u32_e32 v10, 0xfffffc10, v10
	v_lshl_or_b32 v11, v11, 16, v12
	v_lshrrev_b32_e32 v12, 2, v20
	v_and_or_b32 v4, 0xffe, v21, v4
	s_or_b32 vcc_lo, s0, vcc_lo
	v_med3_i32 v18, v18, 0, 13
	v_and_or_b32 v6, 0x1ff, v7, v6
	s_wait_alu 0xfffe
	v_add_co_ci_u32_e32 v12, vcc_lo, 0, v12, vcc_lo
	v_or_b32_e32 v16, 0x1000, v4
	v_cmp_ne_u32_e32 vcc_lo, 0, v0
	v_lshrrev_b32_e32 v21, 8, v7
	v_bfe_u32 v22, v7, 20, 11
	v_lshrrev_b32_e32 v5, 16, v5
	v_lshrrev_b32_e32 v20, v18, v16
	s_wait_alu 0xfffd
	v_cndmask_b32_e64 v0, 0, 1, vcc_lo
	v_cmp_gt_i32_e32 vcc_lo, 31, v19
	v_lshrrev_b32_e32 v7, 16, v7
	v_lshlrev_b32_e32 v18, v18, v20
	s_delay_alu instid0(VALU_DEP_4)
	v_lshl_or_b32 v0, v0, 9, 0x7c00
	s_wait_alu 0xfffd
	v_cndmask_b32_e32 v12, 0x7c00, v12, vcc_lo
	v_cmp_ne_u32_e32 vcc_lo, 0, v6
	s_wait_alu 0xfffd
	v_cndmask_b32_e64 v6, 0, 1, vcc_lo
	v_cmp_ne_u32_e32 vcc_lo, v18, v16
	v_sub_nc_u32_e32 v18, 0x3f1, v22
	v_and_or_b32 v8, 0x1ff, v9, v8
	s_delay_alu instid0(VALU_DEP_4)
	v_and_or_b32 v6, 0xffe, v21, v6
	s_wait_alu 0xfffd
	v_cndmask_b32_e64 v16, 0, 1, vcc_lo
	v_cmp_eq_u32_e32 vcc_lo, 0x40f, v19
	v_med3_i32 v18, v18, 0, 13
	v_bfe_u32 v21, v9, 20, 11
	v_or_b32_e32 v19, 0x1000, v6
	s_wait_alu 0xfffd
	v_cndmask_b32_e32 v0, v12, v0, vcc_lo
	v_or_b32_e32 v12, v20, v16
	v_lshl_or_b32 v16, v10, 12, v4
	v_cmp_gt_i32_e32 vcc_lo, 1, v10
	v_lshrrev_b32_e32 v20, 8, v9
	v_and_or_b32 v0, 0x8000, v1, v0
	s_wait_alu 0xfffd
	v_cndmask_b32_e32 v12, v16, v12, vcc_lo
	v_lshrrev_b32_e32 v16, v18, v19
	v_cmp_ne_u32_e32 vcc_lo, 0, v8
	s_delay_alu instid0(VALU_DEP_3) | instskip(NEXT) | instid1(VALU_DEP_3)
	v_and_b32_e32 v23, 7, v12
	v_lshlrev_b32_e32 v18, v18, v16
	s_wait_alu 0xfffd
	v_cndmask_b32_e64 v8, 0, 1, vcc_lo
	v_lshrrev_b32_e32 v12, 2, v12
	v_cmp_lt_i32_e32 vcc_lo, 5, v23
	v_cmp_ne_u32_e64 s0, v18, v19
	s_delay_alu instid0(VALU_DEP_4)
	v_and_or_b32 v1, 0xffe, v20, v8
	v_sub_nc_u32_e32 v8, 0x3f1, v21
	v_add_nc_u32_e32 v20, 0xfffffc10, v22
	s_wait_alu 0xf1ff
	v_cndmask_b32_e64 v18, 0, 1, s0
	v_cmp_eq_u32_e64 s0, 3, v23
	v_or_b32_e32 v19, 0x1000, v1
	v_med3_i32 v8, v8, 0, 13
	v_lshl_or_b32 v22, v20, 12, v6
	v_or_b32_e32 v16, v16, v18
	s_or_b32 vcc_lo, s0, vcc_lo
	s_wait_alu 0xfffe
	v_add_co_ci_u32_e32 v12, vcc_lo, 0, v12, vcc_lo
	v_lshrrev_b32_e32 v18, v8, v19
	v_cmp_gt_i32_e32 vcc_lo, 1, v20
	s_delay_alu instid0(VALU_DEP_2)
	v_lshlrev_b32_e32 v8, v8, v18
	s_wait_alu 0xfffd
	v_cndmask_b32_e32 v16, v22, v16, vcc_lo
	v_cmp_ne_u32_e32 vcc_lo, 0, v4
	s_wait_alu 0xfffd
	v_cndmask_b32_e64 v4, 0, 1, vcc_lo
	v_cmp_ne_u32_e32 vcc_lo, v8, v19
	v_add_nc_u32_e32 v19, 0xfffffc10, v21
	v_and_b32_e32 v21, 7, v16
	s_delay_alu instid0(VALU_DEP_4)
	v_lshl_or_b32 v4, v4, 9, 0x7c00
	s_wait_alu 0xfffd
	v_cndmask_b32_e64 v8, 0, 1, vcc_lo
	v_cmp_gt_i32_e32 vcc_lo, 31, v10
	v_cmp_gt_i32_e64 s1, 1, v19
	v_cmp_eq_u32_e64 s0, 3, v21
	s_delay_alu instid0(VALU_DEP_4)
	v_or_b32_e32 v8, v18, v8
	v_lshl_or_b32 v18, v19, 12, v1
	s_wait_alu 0xfffd
	v_cndmask_b32_e32 v12, 0x7c00, v12, vcc_lo
	v_cmp_lt_i32_e32 vcc_lo, 5, v21
	s_wait_alu 0xf1ff
	v_cndmask_b32_e64 v8, v18, v8, s1
	v_cmp_eq_u32_e64 s1, 0x40f, v10
	v_lshrrev_b32_e32 v10, 2, v16
	s_or_b32 vcc_lo, s0, vcc_lo
	s_delay_alu instid0(VALU_DEP_2) | instskip(SKIP_1) | instid1(VALU_DEP_2)
	v_cndmask_b32_e64 v4, v12, v4, s1
	s_wait_alu 0xfffe
	v_add_co_ci_u32_e32 v10, vcc_lo, 0, v10, vcc_lo
	v_and_b32_e32 v12, 7, v8
	v_cmp_ne_u32_e32 vcc_lo, 0, v6
	v_lshrrev_b32_e32 v8, 2, v8
	v_cmp_gt_i32_e64 s1, 31, v20
	v_and_or_b32 v4, 0x8000, v5, v4
	v_cmp_eq_u32_e64 s0, 3, v12
	s_wait_alu 0xfffd
	v_cndmask_b32_e64 v6, 0, 1, vcc_lo
	v_cmp_lt_i32_e32 vcc_lo, 5, v12
	s_wait_alu 0xf1ff
	v_cndmask_b32_e64 v10, 0x7c00, v10, s1
	v_and_b32_e32 v5, 0xffff, v0
	v_lshl_or_b32 v6, v6, 9, 0x7c00
	s_or_b32 vcc_lo, s0, vcc_lo
	s_wait_alu 0xfffe
	v_add_co_ci_u32_e32 v8, vcc_lo, 0, v8, vcc_lo
	v_cmp_ne_u32_e32 vcc_lo, 0, v1
	s_wait_alu 0xfffd
	v_cndmask_b32_e64 v1, 0, 1, vcc_lo
	v_cmp_eq_u32_e32 vcc_lo, 0x40f, v20
	s_delay_alu instid0(VALU_DEP_2) | instskip(SKIP_3) | instid1(VALU_DEP_2)
	v_lshl_or_b32 v1, v1, 9, 0x7c00
	s_wait_alu 0xfffd
	v_cndmask_b32_e32 v6, v10, v6, vcc_lo
	v_cmp_gt_i32_e32 vcc_lo, 31, v19
	v_and_or_b32 v6, 0x8000, v7, v6
	s_wait_alu 0xfffd
	v_cndmask_b32_e32 v8, 0x7c00, v8, vcc_lo
	v_cmp_eq_u32_e32 vcc_lo, 0x40f, v19
	s_wait_alu 0xfffd
	s_delay_alu instid0(VALU_DEP_2)
	v_dual_cndmask_b32 v7, v8, v1 :: v_dual_and_b32 v6, 0xffff, v6
	v_lshrrev_b32_e32 v8, 16, v9
	v_add_co_u32 v0, vcc_lo, v2, s2
	s_wait_alu 0xfffd
	v_add_co_ci_u32_e32 v1, vcc_lo, s3, v3, vcc_lo
	v_lshl_or_b32 v9, v4, 16, v5
	v_and_or_b32 v7, 0x8000, v8, v7
	v_add_co_u32 v4, vcc_lo, v0, s2
	s_wait_alu 0xfffd
	v_add_co_ci_u32_e32 v5, vcc_lo, s3, v1, vcc_lo
	s_delay_alu instid0(VALU_DEP_3) | instskip(NEXT) | instid1(VALU_DEP_3)
	v_lshl_or_b32 v8, v7, 16, v6
	v_add_co_u32 v6, vcc_lo, v4, s2
	s_wait_alu 0xfffd
	s_delay_alu instid0(VALU_DEP_3)
	v_add_co_ci_u32_e32 v7, vcc_lo, s3, v5, vcc_lo
	global_store_b32 v[13:14], v15, off
	global_store_b32 v[2:3], v17, off
	;; [unrolled: 1-line block ×5, first 2 shown]
.LBB0_10:
	s_nop 0
	s_sendmsg sendmsg(MSG_DEALLOC_VGPRS)
	s_endpgm
	.section	.rodata,"a",@progbits
	.p2align	6, 0x0
	.amdhsa_kernel bluestein_single_fwd_len1500_dim1_half_op_CI_CI
		.amdhsa_group_segment_fixed_size 6000
		.amdhsa_private_segment_fixed_size 0
		.amdhsa_kernarg_size 104
		.amdhsa_user_sgpr_count 2
		.amdhsa_user_sgpr_dispatch_ptr 0
		.amdhsa_user_sgpr_queue_ptr 0
		.amdhsa_user_sgpr_kernarg_segment_ptr 1
		.amdhsa_user_sgpr_dispatch_id 0
		.amdhsa_user_sgpr_private_segment_size 0
		.amdhsa_wavefront_size32 1
		.amdhsa_uses_dynamic_stack 0
		.amdhsa_enable_private_segment 0
		.amdhsa_system_sgpr_workgroup_id_x 1
		.amdhsa_system_sgpr_workgroup_id_y 0
		.amdhsa_system_sgpr_workgroup_id_z 0
		.amdhsa_system_sgpr_workgroup_info 0
		.amdhsa_system_vgpr_workitem_id 0
		.amdhsa_next_free_vgpr 132
		.amdhsa_next_free_sgpr 20
		.amdhsa_reserve_vcc 1
		.amdhsa_float_round_mode_32 0
		.amdhsa_float_round_mode_16_64 0
		.amdhsa_float_denorm_mode_32 3
		.amdhsa_float_denorm_mode_16_64 3
		.amdhsa_fp16_overflow 0
		.amdhsa_workgroup_processor_mode 1
		.amdhsa_memory_ordered 1
		.amdhsa_forward_progress 0
		.amdhsa_round_robin_scheduling 0
		.amdhsa_exception_fp_ieee_invalid_op 0
		.amdhsa_exception_fp_denorm_src 0
		.amdhsa_exception_fp_ieee_div_zero 0
		.amdhsa_exception_fp_ieee_overflow 0
		.amdhsa_exception_fp_ieee_underflow 0
		.amdhsa_exception_fp_ieee_inexact 0
		.amdhsa_exception_int_div_zero 0
	.end_amdhsa_kernel
	.text
.Lfunc_end0:
	.size	bluestein_single_fwd_len1500_dim1_half_op_CI_CI, .Lfunc_end0-bluestein_single_fwd_len1500_dim1_half_op_CI_CI
                                        ; -- End function
	.section	.AMDGPU.csdata,"",@progbits
; Kernel info:
; codeLenInByte = 17676
; NumSgprs: 22
; NumVgprs: 132
; ScratchSize: 0
; MemoryBound: 0
; FloatMode: 240
; IeeeMode: 1
; LDSByteSize: 6000 bytes/workgroup (compile time only)
; SGPRBlocks: 2
; VGPRBlocks: 16
; NumSGPRsForWavesPerEU: 22
; NumVGPRsForWavesPerEU: 132
; Occupancy: 10
; WaveLimiterHint : 1
; COMPUTE_PGM_RSRC2:SCRATCH_EN: 0
; COMPUTE_PGM_RSRC2:USER_SGPR: 2
; COMPUTE_PGM_RSRC2:TRAP_HANDLER: 0
; COMPUTE_PGM_RSRC2:TGID_X_EN: 1
; COMPUTE_PGM_RSRC2:TGID_Y_EN: 0
; COMPUTE_PGM_RSRC2:TGID_Z_EN: 0
; COMPUTE_PGM_RSRC2:TIDIG_COMP_CNT: 0
	.text
	.p2alignl 7, 3214868480
	.fill 96, 4, 3214868480
	.type	__hip_cuid_90e2471cddd88518,@object ; @__hip_cuid_90e2471cddd88518
	.section	.bss,"aw",@nobits
	.globl	__hip_cuid_90e2471cddd88518
__hip_cuid_90e2471cddd88518:
	.byte	0                               ; 0x0
	.size	__hip_cuid_90e2471cddd88518, 1

	.ident	"AMD clang version 19.0.0git (https://github.com/RadeonOpenCompute/llvm-project roc-6.4.0 25133 c7fe45cf4b819c5991fe208aaa96edf142730f1d)"
	.section	".note.GNU-stack","",@progbits
	.addrsig
	.addrsig_sym __hip_cuid_90e2471cddd88518
	.amdgpu_metadata
---
amdhsa.kernels:
  - .args:
      - .actual_access:  read_only
        .address_space:  global
        .offset:         0
        .size:           8
        .value_kind:     global_buffer
      - .actual_access:  read_only
        .address_space:  global
        .offset:         8
        .size:           8
        .value_kind:     global_buffer
      - .actual_access:  read_only
        .address_space:  global
        .offset:         16
        .size:           8
        .value_kind:     global_buffer
      - .actual_access:  read_only
        .address_space:  global
        .offset:         24
        .size:           8
        .value_kind:     global_buffer
      - .actual_access:  read_only
        .address_space:  global
        .offset:         32
        .size:           8
        .value_kind:     global_buffer
      - .offset:         40
        .size:           8
        .value_kind:     by_value
      - .address_space:  global
        .offset:         48
        .size:           8
        .value_kind:     global_buffer
      - .address_space:  global
        .offset:         56
        .size:           8
        .value_kind:     global_buffer
      - .address_space:  global
        .offset:         64
        .size:           8
        .value_kind:     global_buffer
      - .address_space:  global
        .offset:         72
        .size:           8
        .value_kind:     global_buffer
      - .offset:         80
        .size:           4
        .value_kind:     by_value
      - .address_space:  global
        .offset:         88
        .size:           8
        .value_kind:     global_buffer
      - .address_space:  global
        .offset:         96
        .size:           8
        .value_kind:     global_buffer
    .group_segment_fixed_size: 6000
    .kernarg_segment_align: 8
    .kernarg_segment_size: 104
    .language:       OpenCL C
    .language_version:
      - 2
      - 0
    .max_flat_workgroup_size: 150
    .name:           bluestein_single_fwd_len1500_dim1_half_op_CI_CI
    .private_segment_fixed_size: 0
    .sgpr_count:     22
    .sgpr_spill_count: 0
    .symbol:         bluestein_single_fwd_len1500_dim1_half_op_CI_CI.kd
    .uniform_work_group_size: 1
    .uses_dynamic_stack: false
    .vgpr_count:     132
    .vgpr_spill_count: 0
    .wavefront_size: 32
    .workgroup_processor_mode: 1
amdhsa.target:   amdgcn-amd-amdhsa--gfx1201
amdhsa.version:
  - 1
  - 2
...

	.end_amdgpu_metadata
